;; amdgpu-corpus repo=ROCm/rocFFT kind=compiled arch=gfx1100 opt=O3
	.text
	.amdgcn_target "amdgcn-amd-amdhsa--gfx1100"
	.amdhsa_code_object_version 6
	.protected	bluestein_single_fwd_len1760_dim1_dp_op_CI_CI ; -- Begin function bluestein_single_fwd_len1760_dim1_dp_op_CI_CI
	.globl	bluestein_single_fwd_len1760_dim1_dp_op_CI_CI
	.p2align	8
	.type	bluestein_single_fwd_len1760_dim1_dp_op_CI_CI,@function
bluestein_single_fwd_len1760_dim1_dp_op_CI_CI: ; @bluestein_single_fwd_len1760_dim1_dp_op_CI_CI
; %bb.0:
	s_load_b128 s[16:19], s[0:1], 0x28
	v_mul_u32_u24_e32 v1, 0x175, v0
	s_mov_b32 s2, exec_lo
	v_mov_b32_e32 v19, 0
	s_delay_alu instid0(VALU_DEP_2) | instskip(NEXT) | instid1(VALU_DEP_1)
	v_lshrrev_b32_e32 v1, 16, v1
	v_add_nc_u32_e32 v18, s15, v1
	s_waitcnt lgkmcnt(0)
	s_delay_alu instid0(VALU_DEP_1)
	v_cmpx_gt_u64_e64 s[16:17], v[18:19]
	s_cbranch_execz .LBB0_10
; %bb.1:
	s_clause 0x1
	s_load_b128 s[4:7], s[0:1], 0x18
	s_load_b128 s[8:11], s[0:1], 0x0
	v_mul_lo_u16 v1, 0xb0, v1
	s_delay_alu instid0(VALU_DEP_1) | instskip(NEXT) | instid1(VALU_DEP_1)
	v_sub_nc_u16 v44, v0, v1
	v_and_b32_e32 v20, 0xffff, v44
	s_waitcnt lgkmcnt(0)
	s_load_b128 s[12:15], s[4:5], 0x0
	s_waitcnt lgkmcnt(0)
	v_mad_u64_u32 v[24:25], null, s14, v18, 0
	v_mad_u64_u32 v[26:27], null, s12, v20, 0
	s_mul_hi_u32 s3, s12, 0x3700
	s_mul_i32 s4, s12, 0x3700
	s_mul_i32 s5, s13, 0xffffd400
	;; [unrolled: 1-line block ×3, first 2 shown]
	s_delay_alu instid0(VALU_DEP_1) | instskip(SKIP_1) | instid1(VALU_DEP_2)
	v_dual_mov_b32 v14, v25 :: v_dual_mov_b32 v15, v27
	v_and_b32_e32 v136, 15, v20
	v_mad_u64_u32 v[30:31], null, s15, v18, v[14:15]
	s_delay_alu instid0(VALU_DEP_1) | instskip(NEXT) | instid1(VALU_DEP_1)
	v_dual_mov_b32 v25, v30 :: v_dual_lshlrev_b32 v206, 4, v20
	v_add_co_u32 v16, s2, s8, v206
	s_delay_alu instid0(VALU_DEP_1) | instskip(NEXT) | instid1(VALU_DEP_3)
	v_add_co_ci_u32_e64 v17, null, s9, 0, s2
	v_lshlrev_b64 v[24:25], 4, v[24:25]
	s_delay_alu instid0(VALU_DEP_3) | instskip(NEXT) | instid1(VALU_DEP_3)
	v_add_co_u32 v8, vcc_lo, 0x3000, v16
	v_add_co_ci_u32_e32 v9, vcc_lo, 0, v17, vcc_lo
	v_add_co_u32 v12, vcc_lo, 0x4000, v16
	v_mad_u64_u32 v[34:35], null, s13, v20, v[15:16]
	v_add_co_ci_u32_e32 v13, vcc_lo, 0, v17, vcc_lo
	v_add_co_u32 v10, vcc_lo, 0x1000, v16
	v_add_co_ci_u32_e32 v11, vcc_lo, 0, v17, vcc_lo
	v_add_co_u32 v32, vcc_lo, 0x2000, v16
	;; [unrolled: 2-line block ×3, first 2 shown]
	v_mov_b32_e32 v27, v34
	v_add_co_ci_u32_e32 v29, vcc_lo, 0, v17, vcc_lo
	v_add_co_u32 v36, vcc_lo, 0x6000, v16
	v_add_co_ci_u32_e32 v37, vcc_lo, 0, v17, vcc_lo
	s_delay_alu instid0(VALU_DEP_4) | instskip(SKIP_3) | instid1(VALU_DEP_2)
	v_lshlrev_b64 v[26:27], 4, v[26:27]
	v_add_co_u32 v24, vcc_lo, s18, v24
	v_add_co_ci_u32_e32 v25, vcc_lo, s19, v25, vcc_lo
	s_mul_i32 s2, s13, 0x3700
	v_add_co_u32 v34, vcc_lo, v24, v26
	s_delay_alu instid0(VALU_DEP_2) | instskip(SKIP_1) | instid1(VALU_DEP_2)
	v_add_co_ci_u32_e32 v35, vcc_lo, v25, v27, vcc_lo
	s_add_i32 s3, s3, s2
	v_add_co_u32 v38, vcc_lo, v34, s4
	s_mul_hi_u32 s13, s12, 0xffffd400
	s_delay_alu instid0(VALU_DEP_2) | instskip(SKIP_1) | instid1(VALU_DEP_2)
	v_add_co_ci_u32_e32 v39, vcc_lo, s3, v35, vcc_lo
	s_sub_i32 s2, s13, s12
	v_add_co_u32 v49, vcc_lo, v38, s14
	s_add_i32 s2, s2, s5
	s_clause 0x1
	global_load_b128 v[214:217], v206, s[8:9]
	global_load_b128 v[218:221], v206, s[8:9] offset:2816
	v_add_co_ci_u32_e32 v50, vcc_lo, s2, v39, vcc_lo
	v_add_co_u32 v53, vcc_lo, v49, s4
	global_load_b128 v[243:246], v[8:9], off offset:1792
	v_add_co_ci_u32_e32 v54, vcc_lo, s3, v50, vcc_lo
	v_add_co_u32 v57, vcc_lo, v53, s14
	s_clause 0x2
	global_load_b128 v[222:225], v[10:11], off offset:1536
	global_load_b128 v[8:11], v[12:13], off offset:512
	;; [unrolled: 1-line block ×3, first 2 shown]
	v_add_co_ci_u32_e32 v58, vcc_lo, s2, v54, vcc_lo
	s_clause 0x1
	global_load_b128 v[247:250], v[32:33], off offset:256
	global_load_b128 v[251:254], v[28:29], off offset:2048
	s_clause 0x1
	global_load_b128 v[40:43], v[34:35], off
	global_load_b128 v[45:48], v[38:39], off
	v_add_co_u32 v34, vcc_lo, v57, s4
	v_add_co_ci_u32_e32 v35, vcc_lo, s3, v58, vcc_lo
	s_clause 0x1
	global_load_b128 v[49:52], v[49:50], off
	global_load_b128 v[53:56], v[53:54], off
	v_add_co_u32 v38, vcc_lo, v34, s14
	v_add_co_ci_u32_e32 v39, vcc_lo, s2, v35, vcc_lo
	global_load_b128 v[61:64], v[34:35], off
	v_add_co_u32 v69, vcc_lo, v38, s4
	v_add_co_ci_u32_e32 v70, vcc_lo, s3, v39, vcc_lo
	;; [unrolled: 3-line block ×4, first 2 shown]
	global_load_b128 v[69:72], v[69:70], off
	global_load_b128 v[0:3], v[32:33], off offset:3072
	global_load_b128 v[73:76], v[73:74], off
	global_load_b128 v[4:7], v[36:37], off offset:768
	global_load_b128 v[77:80], v[77:78], off
	s_load_b128 s[4:7], s[6:7], 0x0
	v_add_co_u32 v36, null, 0xb0, v20
	s_load_b64 s[2:3], s[0:1], 0x38
	v_cmp_gt_u16_e32 vcc_lo, 0xa0, v44
	s_delay_alu instid0(VALU_DEP_2)
	v_lshlrev_b32_e32 v30, 5, v36
	s_waitcnt vmcnt(11)
	v_mul_f64 v[81:82], v[42:43], v[216:217]
	v_mul_f64 v[83:84], v[40:41], v[216:217]
	s_waitcnt vmcnt(10)
	v_mul_f64 v[85:86], v[47:48], v[245:246]
	v_mul_f64 v[87:88], v[45:46], v[245:246]
	;; [unrolled: 3-line block ×7, first 2 shown]
	s_waitcnt vmcnt(4)
	v_mul_f64 v[109:110], v[71:72], v[253:254]
	s_waitcnt vmcnt(2)
	v_mul_f64 v[113:114], v[75:76], v[2:3]
	v_mul_f64 v[115:116], v[73:74], v[2:3]
	;; [unrolled: 1-line block ×3, first 2 shown]
	s_waitcnt vmcnt(0)
	v_mul_f64 v[117:118], v[79:80], v[6:7]
	v_mul_f64 v[119:120], v[77:78], v[6:7]
	s_clause 0x1
	scratch_store_b128 off, v[0:3], off
	scratch_store_b128 off, v[4:7], off offset:16
	v_lshlrev_b32_e32 v6, 5, v20
	v_fma_f64 v[40:41], v[40:41], v[214:215], v[81:82]
	v_fma_f64 v[42:43], v[42:43], v[214:215], -v[83:84]
	v_fma_f64 v[45:46], v[45:46], v[243:244], v[85:86]
	v_fma_f64 v[47:48], v[47:48], v[243:244], -v[87:88]
	;; [unrolled: 2-line block ×4, first 2 shown]
	v_and_b32_e32 v93, 1, v20
	v_fma_f64 v[61:62], v[61:62], v[226:227], v[101:102]
	v_fma_f64 v[63:64], v[63:64], v[226:227], -v[103:104]
	v_and_b32_e32 v102, 7, v20
	v_fma_f64 v[57:58], v[57:58], v[222:223], v[97:98]
	v_fma_f64 v[59:60], v[59:60], v[222:223], -v[99:100]
	;; [unrolled: 3-line block ×3, first 2 shown]
	v_fma_f64 v[69:70], v[69:70], v[251:252], v[109:110]
	v_fma_f64 v[73:74], v[73:74], v[0:1], v[113:114]
	v_fma_f64 v[75:76], v[75:76], v[0:1], -v[115:116]
	v_fma_f64 v[71:72], v[71:72], v[251:252], -v[111:112]
	v_fma_f64 v[77:78], v[77:78], v[4:5], v[117:118]
	v_fma_f64 v[79:80], v[79:80], v[4:5], -v[119:120]
	ds_store_b128 v206, v[40:43]
	ds_store_b128 v206, v[49:52] offset:2816
	ds_store_b128 v206, v[53:56] offset:16896
	;; [unrolled: 1-line block ×9, first 2 shown]
	s_waitcnt lgkmcnt(0)
	s_waitcnt_vscnt null, 0x0
	s_barrier
	buffer_gl0_inv
	ds_load_b128 v[40:43], v206 offset:14080
	ds_load_b128 v[45:48], v206
	ds_load_b128 v[49:52], v206 offset:2816
	ds_load_b128 v[53:56], v206 offset:16896
	;; [unrolled: 1-line block ×8, first 2 shown]
	s_waitcnt lgkmcnt(0)
	s_barrier
	buffer_gl0_inv
	v_add_f64 v[40:41], v[45:46], -v[40:41]
	v_add_f64 v[42:43], v[47:48], -v[42:43]
	;; [unrolled: 1-line block ×10, first 2 shown]
	v_lshlrev_b32_e32 v57, 4, v93
	v_fma_f64 v[85:86], v[45:46], 2.0, -v[40:41]
	v_fma_f64 v[87:88], v[47:48], 2.0, -v[42:43]
	;; [unrolled: 1-line block ×10, first 2 shown]
	v_lshlrev_b32_e32 v45, 1, v20
	s_delay_alu instid0(VALU_DEP_1)
	v_add_nc_u32_e32 v46, 0x2c0, v45
	v_add_nc_u32_e32 v47, 0x420, v45
	;; [unrolled: 1-line block ×3, first 2 shown]
	v_lshlrev_b32_e32 v52, 4, v45
	v_and_or_b32 v44, 0x1e0, v45, v136
	v_lshlrev_b32_e32 v27, 4, v46
	v_lshlrev_b32_e32 v23, 4, v47
	;; [unrolled: 1-line block ×3, first 2 shown]
	ds_store_b128 v6, v[85:88]
	ds_store_b128 v6, v[40:43] offset:16
	ds_store_b128 v30, v[48:51]
	ds_store_b128 v30, v[53:56] offset:16
	ds_store_b128 v52, v[61:64] offset:11264
	;; [unrolled: 1-line block ×7, first 2 shown]
	s_waitcnt lgkmcnt(0)
	s_barrier
	buffer_gl0_inv
	global_load_b128 v[56:59], v57, s[10:11]
	ds_load_b128 v[40:43], v206 offset:14080
	ds_load_b128 v[48:51], v206 offset:16896
	;; [unrolled: 1-line block ×6, first 2 shown]
	v_and_or_b32 v94, 0x7fc, v46, v93
	v_and_or_b32 v95, 0x7fc, v47, v93
	v_and_or_b32 v99, 0x7f8, v47, v98
	v_and_or_b32 v103, 0x7f0, v47, v102
	v_and_or_b32 v47, 0x7e0, v47, v136
	v_lshlrev_b32_e32 v24, 4, v94
	v_lshlrev_b32_e32 v19, 4, v95
	;; [unrolled: 1-line block ×6, first 2 shown]
	s_waitcnt vmcnt(0) lgkmcnt(5)
	v_mul_f64 v[73:74], v[42:43], v[58:59]
	v_mul_f64 v[75:76], v[40:41], v[58:59]
	s_waitcnt lgkmcnt(4)
	v_mul_f64 v[77:78], v[50:51], v[58:59]
	v_mul_f64 v[79:80], v[48:49], v[58:59]
	s_waitcnt lgkmcnt(3)
	;; [unrolled: 3-line block ×4, first 2 shown]
	v_mul_f64 v[89:90], v[67:68], v[58:59]
	v_mul_f64 v[91:92], v[65:66], v[58:59]
	v_fma_f64 v[73:74], v[40:41], v[56:57], -v[73:74]
	v_fma_f64 v[75:76], v[42:43], v[56:57], v[75:76]
	v_fma_f64 v[77:78], v[48:49], v[56:57], -v[77:78]
	v_fma_f64 v[79:80], v[50:51], v[56:57], v[79:80]
	;; [unrolled: 2-line block ×5, first 2 shown]
	ds_load_b128 v[40:43], v206
	ds_load_b128 v[48:51], v206 offset:2816
	ds_load_b128 v[52:55], v206 offset:5632
	;; [unrolled: 1-line block ×3, first 2 shown]
	s_waitcnt lgkmcnt(0)
	s_barrier
	buffer_gl0_inv
	v_add_f64 v[65:66], v[40:41], -v[73:74]
	v_add_f64 v[67:68], v[42:43], -v[75:76]
	;; [unrolled: 1-line block ×10, first 2 shown]
	v_fma_f64 v[40:41], v[40:41], 2.0, -v[65:66]
	v_fma_f64 v[42:43], v[42:43], 2.0, -v[67:68]
	;; [unrolled: 1-line block ×10, first 2 shown]
	v_lshlrev_b32_e32 v61, 1, v36
	v_and_or_b32 v62, 0x1fc, v45, v93
	v_lshlrev_b32_e32 v63, 4, v98
	s_delay_alu instid0(VALU_DEP_3) | instskip(SKIP_1) | instid1(VALU_DEP_4)
	v_and_or_b32 v64, 0x3fc, v61, v93
	v_and_or_b32 v93, 0x7fc, v60, v93
	v_lshlrev_b32_e32 v31, 4, v62
	s_delay_alu instid0(VALU_DEP_3) | instskip(NEXT) | instid1(VALU_DEP_3)
	v_lshlrev_b32_e32 v234, 4, v64
	v_lshlrev_b32_e32 v205, 4, v93
	ds_store_b128 v31, v[40:43]
	ds_store_b128 v31, v[65:68] offset:32
	ds_store_b128 v234, v[48:51]
	ds_store_b128 v234, v[73:76] offset:32
	;; [unrolled: 2-line block ×5, first 2 shown]
	s_waitcnt lgkmcnt(0)
	s_barrier
	buffer_gl0_inv
	global_load_b128 v[52:55], v63, s[10:11] offset:32
	ds_load_b128 v[40:43], v206 offset:14080
	ds_load_b128 v[48:51], v206 offset:16896
	;; [unrolled: 1-line block ×6, first 2 shown]
	s_waitcnt vmcnt(0) lgkmcnt(5)
	v_mul_f64 v[78:79], v[42:43], v[54:55]
	v_mul_f64 v[80:81], v[40:41], v[54:55]
	s_waitcnt lgkmcnt(4)
	v_mul_f64 v[82:83], v[50:51], v[54:55]
	v_mul_f64 v[84:85], v[48:49], v[54:55]
	s_waitcnt lgkmcnt(3)
	;; [unrolled: 3-line block ×4, first 2 shown]
	v_mul_f64 v[94:95], v[72:73], v[54:55]
	v_mul_f64 v[96:97], v[70:71], v[54:55]
	v_fma_f64 v[78:79], v[40:41], v[52:53], -v[78:79]
	v_fma_f64 v[80:81], v[42:43], v[52:53], v[80:81]
	v_fma_f64 v[82:83], v[48:49], v[52:53], -v[82:83]
	v_fma_f64 v[84:85], v[50:51], v[52:53], v[84:85]
	;; [unrolled: 2-line block ×5, first 2 shown]
	ds_load_b128 v[40:43], v206
	ds_load_b128 v[48:51], v206 offset:2816
	ds_load_b128 v[62:65], v206 offset:5632
	;; [unrolled: 1-line block ×3, first 2 shown]
	s_waitcnt lgkmcnt(0)
	s_barrier
	buffer_gl0_inv
	v_add_f64 v[70:71], v[40:41], -v[78:79]
	v_add_f64 v[72:73], v[42:43], -v[80:81]
	;; [unrolled: 1-line block ×10, first 2 shown]
	v_and_or_b32 v94, 0x1f8, v45, v98
	v_and_or_b32 v96, 0x3f8, v61, v98
	;; [unrolled: 1-line block ×3, first 2 shown]
	v_lshlrev_b32_e32 v95, 4, v102
	v_and_or_b32 v98, 0x7f8, v60, v98
	v_lshlrev_b32_e32 v213, 4, v94
	v_lshlrev_b32_e32 v25, 4, v96
	v_lshlrev_b32_e32 v21, 4, v97
	s_delay_alu instid0(VALU_DEP_4)
	v_lshlrev_b32_e32 v12, 4, v98
	v_fma_f64 v[40:41], v[40:41], 2.0, -v[70:71]
	v_fma_f64 v[42:43], v[42:43], 2.0, -v[72:73]
	;; [unrolled: 1-line block ×10, first 2 shown]
	ds_store_b128 v213, v[40:43]
	ds_store_b128 v213, v[70:73] offset:64
	ds_store_b128 v25, v[48:51]
	ds_store_b128 v25, v[78:81] offset:64
	;; [unrolled: 2-line block ×5, first 2 shown]
	s_waitcnt lgkmcnt(0)
	s_barrier
	buffer_gl0_inv
	global_load_b128 v[48:51], v95, s[10:11] offset:96
	ds_load_b128 v[40:43], v206 offset:14080
	ds_load_b128 v[62:65], v206 offset:16896
	;; [unrolled: 1-line block ×6, first 2 shown]
	s_waitcnt vmcnt(0) lgkmcnt(5)
	v_mul_f64 v[82:83], v[42:43], v[50:51]
	v_mul_f64 v[84:85], v[40:41], v[50:51]
	s_waitcnt lgkmcnt(4)
	v_mul_f64 v[86:87], v[64:65], v[50:51]
	v_mul_f64 v[88:89], v[62:63], v[50:51]
	s_waitcnt lgkmcnt(3)
	;; [unrolled: 3-line block ×4, first 2 shown]
	v_mul_f64 v[98:99], v[76:77], v[50:51]
	v_mul_f64 v[100:101], v[74:75], v[50:51]
	v_fma_f64 v[82:83], v[40:41], v[48:49], -v[82:83]
	v_fma_f64 v[84:85], v[42:43], v[48:49], v[84:85]
	v_fma_f64 v[86:87], v[62:63], v[48:49], -v[86:87]
	v_fma_f64 v[88:89], v[64:65], v[48:49], v[88:89]
	;; [unrolled: 2-line block ×5, first 2 shown]
	ds_load_b128 v[40:43], v206
	ds_load_b128 v[62:65], v206 offset:2816
	ds_load_b128 v[66:69], v206 offset:5632
	;; [unrolled: 1-line block ×3, first 2 shown]
	s_waitcnt lgkmcnt(0)
	s_barrier
	buffer_gl0_inv
	v_add_f64 v[74:75], v[40:41], -v[82:83]
	v_add_f64 v[76:77], v[42:43], -v[84:85]
	;; [unrolled: 1-line block ×10, first 2 shown]
	v_and_or_b32 v98, 0x1f0, v45, v102
	v_and_or_b32 v100, 0x3f0, v61, v102
	;; [unrolled: 1-line block ×3, first 2 shown]
	v_lshlrev_b32_e32 v99, 4, v136
	v_and_or_b32 v102, 0x7f0, v60, v102
	v_lshlrev_b32_e32 v26, 4, v98
	v_lshlrev_b32_e32 v22, 4, v100
	;; [unrolled: 1-line block ×3, first 2 shown]
	v_and_or_b32 v45, 0x3e0, v61, v136
	v_lshlrev_b32_e32 v233, 4, v102
	v_and_or_b32 v46, 0x7e0, v46, v136
	v_and_or_b32 v60, 0x7e0, v60, v136
                                        ; implicit-def: $vgpr136_vgpr137
	s_delay_alu instid0(VALU_DEP_4) | instskip(NEXT) | instid1(VALU_DEP_3)
	v_lshlrev_b32_e32 v255, 4, v45
	v_lshlrev_b32_e32 v3, 4, v46
	s_delay_alu instid0(VALU_DEP_3)
	v_lshlrev_b32_e32 v2, 4, v60
	v_fma_f64 v[40:41], v[40:41], 2.0, -v[74:75]
	v_fma_f64 v[42:43], v[42:43], 2.0, -v[76:77]
	v_fma_f64 v[62:63], v[62:63], 2.0, -v[82:83]
	v_fma_f64 v[64:65], v[64:65], 2.0, -v[84:85]
	v_fma_f64 v[66:67], v[66:67], 2.0, -v[86:87]
	v_fma_f64 v[68:69], v[68:69], 2.0, -v[88:89]
	v_fma_f64 v[70:71], v[70:71], 2.0, -v[90:91]
	v_fma_f64 v[72:73], v[72:73], 2.0, -v[92:93]
	v_fma_f64 v[78:79], v[78:79], 2.0, -v[94:95]
	v_fma_f64 v[80:81], v[80:81], 2.0, -v[96:97]
	ds_store_b128 v26, v[40:43]
	ds_store_b128 v26, v[74:77] offset:128
	ds_store_b128 v22, v[62:65]
	ds_store_b128 v22, v[82:85] offset:128
	;; [unrolled: 2-line block ×5, first 2 shown]
	s_waitcnt lgkmcnt(0)
	s_barrier
	buffer_gl0_inv
	global_load_b128 v[40:43], v99, s[10:11] offset:224
	ds_load_b128 v[62:65], v206 offset:14080
	ds_load_b128 v[66:69], v206 offset:16896
	;; [unrolled: 1-line block ×6, first 2 shown]
	s_waitcnt vmcnt(0) lgkmcnt(5)
	v_mul_f64 v[86:87], v[64:65], v[42:43]
	v_mul_f64 v[88:89], v[62:63], v[42:43]
	s_waitcnt lgkmcnt(4)
	v_mul_f64 v[90:91], v[68:69], v[42:43]
	v_mul_f64 v[92:93], v[66:67], v[42:43]
	s_waitcnt lgkmcnt(3)
	;; [unrolled: 3-line block ×4, first 2 shown]
	v_mul_f64 v[102:103], v[80:81], v[42:43]
	v_mul_f64 v[104:105], v[78:79], v[42:43]
	v_fma_f64 v[86:87], v[62:63], v[40:41], -v[86:87]
	v_fma_f64 v[88:89], v[64:65], v[40:41], v[88:89]
	v_fma_f64 v[90:91], v[66:67], v[40:41], -v[90:91]
	v_fma_f64 v[92:93], v[68:69], v[40:41], v[92:93]
	;; [unrolled: 2-line block ×5, first 2 shown]
	ds_load_b128 v[62:65], v206
	ds_load_b128 v[66:69], v206 offset:2816
	ds_load_b128 v[70:73], v206 offset:5632
	;; [unrolled: 1-line block ×3, first 2 shown]
	s_waitcnt lgkmcnt(0)
	s_barrier
	buffer_gl0_inv
	v_add_f64 v[104:105], v[62:63], -v[86:87]
	v_add_f64 v[106:107], v[64:65], -v[88:89]
	v_add_f64 v[108:109], v[66:67], -v[90:91]
	v_add_f64 v[110:111], v[68:69], -v[92:93]
	v_add_f64 v[100:101], v[70:71], -v[94:95]
	v_add_f64 v[102:103], v[72:73], -v[96:97]
	v_add_f64 v[120:121], v[74:75], -v[98:99]
	v_add_f64 v[122:123], v[76:77], -v[112:113]
	v_add_f64 v[132:133], v[82:83], -v[78:79]
	v_add_f64 v[134:135], v[84:85], -v[80:81]
	v_fma_f64 v[96:97], v[62:63], 2.0, -v[104:105]
	v_fma_f64 v[98:99], v[64:65], 2.0, -v[106:107]
	;; [unrolled: 1-line block ×10, first 2 shown]
	ds_store_b128 v4, v[96:99]
	ds_store_b128 v4, v[104:107] offset:256
	ds_store_b128 v255, v[124:127]
	ds_store_b128 v255, v[108:111] offset:256
	;; [unrolled: 2-line block ×5, first 2 shown]
	s_waitcnt lgkmcnt(0)
	s_barrier
	buffer_gl0_inv
	s_and_saveexec_b32 s0, vcc_lo
	s_cbranch_execz .LBB0_3
; %bb.2:
	ds_load_b128 v[96:99], v206
	ds_load_b128 v[104:107], v206 offset:2560
	ds_load_b128 v[124:127], v206 offset:5120
	;; [unrolled: 1-line block ×10, first 2 shown]
.LBB0_3:
	s_or_b32 exec_lo, exec_lo, s0
	v_and_b32_e32 v35, 31, v20
	s_mov_b32 s0, 0xf8bb580b
	s_mov_b32 s1, 0xbfe14ced
	;; [unrolled: 1-line block ×4, first 2 shown]
	v_mad_u64_u32 v[88:89], null, 0xa0, v35, s[10:11]
	s_mov_b32 s13, 0x3feaeb8c
	s_mov_b32 s15, 0xbfed1bb4
	;; [unrolled: 1-line block ×6, first 2 shown]
	s_clause 0x9
	global_load_b128 v[44:47], v[88:89], off offset:480
	global_load_b128 v[60:63], v[88:89], off offset:624
	;; [unrolled: 1-line block ×10, first 2 shown]
	s_mov_b32 s20, 0x640f44db
	s_mov_b32 s26, 0xbb3a28a1
	s_mov_b32 s21, 0xbfc2375f
	s_mov_b32 s27, 0xbfe82f19
	s_mov_b32 s22, 0x7f775887
	s_mov_b32 s28, 0xfd768dbf
	s_mov_b32 s23, 0xbfe4f49e
	s_mov_b32 s29, 0xbfd207e7
	s_mov_b32 s24, 0x9bcd5057
	s_mov_b32 s25, 0xbfeeb42a
	v_lshrrev_b32_e32 v1, 5, v20
	s_waitcnt vmcnt(0) lgkmcnt(0)
	s_barrier
	buffer_gl0_inv
	v_mul_f64 v[140:141], v[106:107], v[46:47]
	v_mul_f64 v[142:143], v[104:105], v[46:47]
	;; [unrolled: 1-line block ×10, first 2 shown]
	v_fma_f64 v[189:190], v[104:105], v[44:45], -v[140:141]
	v_fma_f64 v[191:192], v[106:107], v[44:45], v[142:143]
	v_fma_f64 v[106:107], v[138:139], v[60:61], v[144:145]
	v_fma_f64 v[104:105], v[136:137], v[60:61], -v[146:147]
	v_mul_f64 v[140:141], v[110:111], v[78:79]
	v_mul_f64 v[142:143], v[108:109], v[78:79]
	;; [unrolled: 1-line block ×4, first 2 shown]
	v_fma_f64 v[136:137], v[124:125], v[64:65], -v[148:149]
	v_fma_f64 v[138:139], v[126:127], v[64:65], v[150:151]
	v_fma_f64 v[126:127], v[134:135], v[68:69], v[154:155]
	v_fma_f64 v[124:125], v[132:133], v[68:69], -v[152:153]
	v_mul_f64 v[148:149], v[118:119], v[86:87]
	v_mul_f64 v[150:151], v[116:117], v[86:87]
	;; [unrolled: 1-line block ×4, first 2 shown]
	v_add_f64 v[193:194], v[191:192], -v[106:107]
	v_add_f64 v[197:198], v[189:190], -v[104:105]
	v_fma_f64 v[132:133], v[108:109], v[76:77], -v[140:141]
	v_fma_f64 v[134:135], v[110:111], v[76:77], v[142:143]
	v_fma_f64 v[108:109], v[128:129], v[72:73], -v[144:145]
	v_fma_f64 v[110:111], v[130:131], v[72:73], v[146:147]
	v_add_f64 v[195:196], v[189:190], v[104:105]
	v_add_f64 v[199:200], v[191:192], v[106:107]
	v_add_f64 v[157:158], v[138:139], -v[126:127]
	v_add_f64 v[146:147], v[136:137], -v[124:125]
	v_mul_f64 v[128:129], v[102:103], v[94:95]
	v_mul_f64 v[130:131], v[100:101], v[94:95]
	v_fma_f64 v[140:141], v[116:117], v[84:85], -v[148:149]
	v_fma_f64 v[142:143], v[118:119], v[84:85], v[150:151]
	v_fma_f64 v[116:117], v[120:121], v[80:81], -v[152:153]
	v_fma_f64 v[118:119], v[122:123], v[80:81], v[154:155]
	v_add_f64 v[122:123], v[136:137], v[124:125]
	v_add_f64 v[144:145], v[138:139], v[126:127]
	v_mul_f64 v[201:202], v[193:194], s[0:1]
	v_mul_f64 v[203:204], v[197:198], s[0:1]
	v_add_f64 v[154:155], v[132:133], -v[108:109]
	v_add_f64 v[169:170], v[134:135], -v[110:111]
	v_add_f64 v[152:153], v[134:135], v[110:111]
	v_mul_f64 v[33:34], v[157:158], s[14:15]
	v_mul_f64 v[150:151], v[146:147], s[14:15]
	v_fma_f64 v[100:101], v[100:101], v[92:93], -v[128:129]
	v_fma_f64 v[120:121], v[102:103], v[92:93], v[130:131]
	v_fma_f64 v[102:103], v[112:113], v[88:89], -v[159:160]
	v_fma_f64 v[112:113], v[114:115], v[88:89], v[161:162]
	v_add_f64 v[114:115], v[132:133], v[108:109]
	v_add_f64 v[167:168], v[140:141], -v[116:117]
	v_add_f64 v[183:184], v[142:143], -v[118:119]
	v_fma_f64 v[163:164], v[195:196], s[12:13], v[201:202]
	v_fma_f64 v[165:166], v[199:200], s[12:13], -v[203:204]
	v_mul_f64 v[161:162], v[154:155], s[18:19]
	v_mul_f64 v[159:160], v[169:170], s[18:19]
	v_fma_f64 v[128:129], v[122:123], s[16:17], v[33:34]
	v_fma_f64 v[130:131], v[144:145], s[16:17], -v[150:151]
	v_add_f64 v[185:186], v[100:101], -v[102:103]
	v_add_f64 v[187:188], v[120:121], -v[112:113]
	v_mul_f64 v[173:174], v[167:168], s[26:27]
	v_mul_f64 v[171:172], v[183:184], s[26:27]
	v_add_f64 v[175:176], v[96:97], v[163:164]
	v_add_f64 v[177:178], v[98:99], v[165:166]
	;; [unrolled: 1-line block ×4, first 2 shown]
	v_fma_f64 v[237:238], v[152:153], s[20:21], -v[161:162]
	v_fma_f64 v[235:236], v[114:115], s[20:21], v[159:160]
	v_mul_f64 v[181:182], v[185:186], s[28:29]
	v_mul_f64 v[179:180], v[187:188], s[28:29]
	v_add_f64 v[128:129], v[128:129], v[175:176]
	v_add_f64 v[130:131], v[130:131], v[177:178]
	;; [unrolled: 1-line block ×4, first 2 shown]
	v_fma_f64 v[239:240], v[163:164], s[22:23], v[171:172]
	v_fma_f64 v[241:242], v[165:166], s[22:23], -v[173:174]
	v_add_f64 v[128:129], v[235:236], v[128:129]
	v_add_f64 v[130:131], v[237:238], v[130:131]
	v_fma_f64 v[235:236], v[175:176], s[24:25], v[179:180]
	v_fma_f64 v[237:238], v[177:178], s[24:25], -v[181:182]
	s_delay_alu instid0(VALU_DEP_4) | instskip(NEXT) | instid1(VALU_DEP_4)
	v_add_f64 v[128:129], v[239:240], v[128:129]
	v_add_f64 v[130:131], v[241:242], v[130:131]
	s_delay_alu instid0(VALU_DEP_2) | instskip(NEXT) | instid1(VALU_DEP_2)
	v_add_f64 v[128:129], v[235:236], v[128:129]
	v_add_f64 v[130:131], v[237:238], v[130:131]
	s_and_saveexec_b32 s33, vcc_lo
	s_cbranch_execz .LBB0_5
; %bb.4:
	scratch_store_b64 off, v[33:34], off offset:76 ; 8-byte Folded Spill
	v_mov_b32_e32 v34, v18
	s_clause 0x2
	scratch_store_b32 off, v20, off offset:32
	scratch_store_b32 off, v19, off offset:36
	scratch_store_b32 off, v21, off offset:40
	v_mov_b32_e32 v21, v11
	s_clause 0x3
	scratch_store_b32 off, v22, off offset:48
	scratch_store_b32 off, v23, off offset:52
	;; [unrolled: 1-line block ×4, first 2 shown]
	v_dual_mov_b32 v22, v243 :: v_dual_mov_b32 v23, v244
	s_clause 0x1
	scratch_store_b32 off, v26, off offset:64
	scratch_store_b32 off, v27, off offset:68
	v_dual_mov_b32 v26, v247 :: v_dual_mov_b32 v29, v250
	v_mul_f64 v[235:236], v[199:200], s[24:25]
	v_mul_f64 v[239:240], v[199:200], s[22:23]
	v_dual_mov_b32 v18, v8 :: v_dual_mov_b32 v25, v246
	v_dual_mov_b32 v24, v245 :: v_dual_mov_b32 v27, v248
	v_mul_f64 v[243:244], v[199:200], s[20:21]
	v_mov_b32_e32 v28, v249
	v_mul_f64 v[247:248], v[199:200], s[16:17]
	v_mul_f64 v[199:200], v[199:200], s[12:13]
	s_mov_b32 s39, 0x3fefac9e
	s_mov_b32 s38, s18
	;; [unrolled: 1-line block ×8, first 2 shown]
	v_dual_mov_b32 v20, v10 :: v_dual_mov_b32 v19, v9
	v_add_f64 v[8:9], v[98:99], v[191:192]
	scratch_store_b32 off, v31, off offset:72 ; 4-byte Folded Spill
	v_dual_mov_b32 v30, v251 :: v_dual_mov_b32 v33, v254
	v_dual_mov_b32 v31, v252 :: v_dual_mov_b32 v32, v253
	v_mov_b32_e32 v5, v3
	v_mul_f64 v[251:252], v[193:194], s[18:19]
	s_mov_b32 s41, 0x3fe14ced
	s_mov_b32 s40, s0
	v_mov_b32_e32 v3, v1
	v_mov_b32_e32 v1, v6
	scratch_store_b32 off, v35, off offset:44 ; 4-byte Folded Spill
	v_mov_b32_e32 v35, v14
	v_mov_b32_e32 v149, v17
	v_mul_f64 v[231:232], v[177:178], s[22:23]
	v_mov_b32_e32 v148, v16
	v_mov_b32_e32 v14, v226
	v_fma_f64 v[237:238], v[197:198], s[36:37], v[235:236]
	v_fma_f64 v[235:236], v[197:198], s[28:29], v[235:236]
	;; [unrolled: 1-line block ×4, first 2 shown]
	v_dual_mov_b32 v15, v227 :: v_dual_mov_b32 v16, v228
	v_fma_f64 v[245:246], v[197:198], s[18:19], v[243:244]
	v_fma_f64 v[243:244], v[197:198], s[38:39], v[243:244]
	;; [unrolled: 1-line block ×4, first 2 shown]
	v_add_f64 v[199:200], v[203:204], v[199:200]
	v_mul_f64 v[203:204], v[193:194], s[28:29]
	v_mul_f64 v[247:248], v[193:194], s[26:27]
	;; [unrolled: 1-line block ×3, first 2 shown]
	v_mov_b32_e32 v17, v229
	v_mul_f64 v[227:228], v[187:188], s[40:41]
	v_mul_f64 v[229:230], v[165:166], s[12:13]
	scratch_store_b64 off, v[8:9], off offset:84 ; 8-byte Folded Spill
	v_add_f64 v[8:9], v[96:97], v[189:190]
	v_fma_f64 v[209:210], v[195:196], s[20:21], -v[251:252]
	v_fma_f64 v[251:252], v[195:196], s[20:21], v[251:252]
	v_add_f64 v[189:190], v[98:99], v[237:238]
	v_add_f64 v[237:238], v[98:99], v[239:240]
	;; [unrolled: 1-line block ×3, first 2 shown]
	v_fma_f64 v[253:254], v[195:196], s[24:25], v[203:204]
	v_fma_f64 v[203:204], v[195:196], s[24:25], -v[203:204]
	v_fma_f64 v[207:208], v[195:196], s[22:23], v[247:248]
	v_fma_f64 v[247:248], v[195:196], s[22:23], -v[247:248]
	v_fma_f64 v[211:212], v[195:196], s[16:17], -v[193:194]
	v_fma_f64 v[193:194], v[195:196], s[16:17], v[193:194]
	v_mul_f64 v[195:196], v[195:196], s[12:13]
	scratch_store_b64 off, v[8:9], off offset:92 ; 8-byte Folded Spill
	v_dual_mov_b32 v6, v218 :: v_dual_mov_b32 v7, v219
	v_dual_mov_b32 v8, v220 :: v_dual_mov_b32 v9, v221
	v_mov_b32_e32 v218, v12
	v_mov_b32_e32 v10, v222
	v_add_f64 v[209:210], v[96:97], v[209:210]
	v_dual_mov_b32 v11, v223 :: v_dual_mov_b32 v12, v224
	v_mov_b32_e32 v13, v225
	v_mul_f64 v[221:222], v[177:178], s[20:21]
	v_mul_f64 v[223:224], v[187:188], s[18:19]
	;; [unrolled: 1-line block ×3, first 2 shown]
	v_add_f64 v[191:192], v[96:97], v[253:254]
	v_add_f64 v[203:204], v[96:97], v[203:204]
	;; [unrolled: 1-line block ×6, first 2 shown]
	v_add_f64 v[195:196], v[195:196], -v[201:202]
	v_mul_f64 v[193:194], v[144:145], s[12:13]
	v_add_f64 v[211:212], v[96:97], v[211:212]
	v_add_f64 v[201:202], v[98:99], v[235:236]
	;; [unrolled: 1-line block ×8, first 2 shown]
	v_fma_f64 v[96:97], v[146:147], s[0:1], v[193:194]
	v_fma_f64 v[193:194], v[146:147], s[40:41], v[193:194]
	s_delay_alu instid0(VALU_DEP_2) | instskip(SKIP_1) | instid1(VALU_DEP_3)
	v_add_f64 v[96:97], v[96:97], v[189:190]
	v_mul_f64 v[189:190], v[157:158], s[40:41]
	v_add_f64 v[193:194], v[193:194], v[201:202]
	v_mul_f64 v[201:202], v[152:153], s[12:13]
	s_delay_alu instid0(VALU_DEP_3) | instskip(SKIP_1) | instid1(VALU_DEP_2)
	v_fma_f64 v[98:99], v[122:123], s[12:13], v[189:190]
	v_fma_f64 v[189:190], v[122:123], s[12:13], -v[189:190]
	v_add_f64 v[98:99], v[98:99], v[191:192]
	v_mul_f64 v[191:192], v[152:153], s[22:23]
	s_delay_alu instid0(VALU_DEP_3) | instskip(SKIP_2) | instid1(VALU_DEP_4)
	v_add_f64 v[189:190], v[189:190], v[203:204]
	v_fma_f64 v[203:204], v[154:155], s[40:41], v[201:202]
	v_fma_f64 v[201:202], v[154:155], s[0:1], v[201:202]
	;; [unrolled: 1-line block ×4, first 2 shown]
	s_delay_alu instid0(VALU_DEP_2) | instskip(SKIP_1) | instid1(VALU_DEP_3)
	v_add_f64 v[96:97], v[195:196], v[96:97]
	v_mul_f64 v[195:196], v[169:170], s[26:27]
	v_add_f64 v[191:192], v[191:192], v[193:194]
	s_delay_alu instid0(VALU_DEP_2) | instskip(SKIP_2) | instid1(VALU_DEP_3)
	v_fma_f64 v[197:198], v[114:115], s[22:23], v[195:196]
	v_fma_f64 v[193:194], v[114:115], s[22:23], -v[195:196]
	v_fma_f64 v[195:196], v[175:176], s[20:21], -v[223:224]
	v_add_f64 v[98:99], v[197:198], v[98:99]
	v_mul_f64 v[197:198], v[165:166], s[16:17]
	s_delay_alu instid0(VALU_DEP_4) | instskip(NEXT) | instid1(VALU_DEP_2)
	v_add_f64 v[189:190], v[193:194], v[189:190]
	v_fma_f64 v[199:200], v[167:168], s[14:15], v[197:198]
	v_fma_f64 v[193:194], v[167:168], s[34:35], v[197:198]
	v_mul_f64 v[197:198], v[144:145], s[20:21]
	s_delay_alu instid0(VALU_DEP_3) | instskip(SKIP_1) | instid1(VALU_DEP_4)
	v_add_f64 v[96:97], v[199:200], v[96:97]
	v_mul_f64 v[199:200], v[183:184], s[34:35]
	v_add_f64 v[191:192], v[193:194], v[191:192]
	s_delay_alu instid0(VALU_DEP_2) | instskip(SKIP_2) | instid1(VALU_DEP_3)
	v_fma_f64 v[193:194], v[163:164], s[16:17], -v[199:200]
	v_fma_f64 v[219:220], v[163:164], s[16:17], v[199:200]
	v_mul_f64 v[199:200], v[157:158], s[38:39]
	v_add_f64 v[189:190], v[193:194], v[189:190]
	v_fma_f64 v[193:194], v[185:186], s[18:19], v[221:222]
	s_delay_alu instid0(VALU_DEP_4) | instskip(SKIP_1) | instid1(VALU_DEP_4)
	v_add_f64 v[219:220], v[219:220], v[98:99]
	v_fma_f64 v[98:99], v[185:186], s[38:39], v[221:222]
	v_add_f64 v[189:190], v[195:196], v[189:190]
	s_delay_alu instid0(VALU_DEP_4)
	v_add_f64 v[191:192], v[193:194], v[191:192]
	v_fma_f64 v[193:194], v[146:147], s[18:19], v[197:198]
	v_fma_f64 v[195:196], v[122:123], s[20:21], v[199:200]
	;; [unrolled: 1-line block ×3, first 2 shown]
	v_add_f64 v[98:99], v[98:99], v[96:97]
	v_fma_f64 v[96:97], v[175:176], s[20:21], v[223:224]
	v_fma_f64 v[199:200], v[122:123], s[20:21], -v[199:200]
	v_mul_f64 v[223:224], v[177:178], s[16:17]
	v_add_f64 v[193:194], v[193:194], v[235:236]
	v_add_f64 v[195:196], v[195:196], v[207:208]
	;; [unrolled: 1-line block ×3, first 2 shown]
	v_mul_f64 v[235:236], v[187:188], s[34:35]
	v_add_f64 v[96:97], v[96:97], v[219:220]
	v_add_f64 v[199:200], v[199:200], v[239:240]
	v_mul_f64 v[239:240], v[144:145], s[24:25]
	v_mul_f64 v[187:188], v[187:188], s[26:27]
	v_add_f64 v[193:194], v[203:204], v[193:194]
	v_mul_f64 v[203:204], v[169:170], s[0:1]
	v_add_f64 v[197:198], v[201:202], v[197:198]
	s_delay_alu instid0(VALU_DEP_2) | instskip(SKIP_2) | instid1(VALU_DEP_3)
	v_fma_f64 v[207:208], v[114:115], s[12:13], v[203:204]
	v_fma_f64 v[201:202], v[114:115], s[12:13], -v[203:204]
	v_fma_f64 v[203:204], v[175:176], s[16:17], -v[235:236]
	v_add_f64 v[195:196], v[207:208], v[195:196]
	v_mul_f64 v[207:208], v[165:166], s[24:25]
	s_delay_alu instid0(VALU_DEP_4) | instskip(NEXT) | instid1(VALU_DEP_2)
	v_add_f64 v[199:200], v[201:202], v[199:200]
	v_fma_f64 v[219:220], v[167:168], s[36:37], v[207:208]
	v_fma_f64 v[201:202], v[167:168], s[28:29], v[207:208]
	v_mul_f64 v[207:208], v[144:145], s[22:23]
	v_mul_f64 v[144:145], v[144:145], s[16:17]
	s_delay_alu instid0(VALU_DEP_4) | instskip(SKIP_2) | instid1(VALU_DEP_4)
	v_add_f64 v[193:194], v[219:220], v[193:194]
	v_mul_f64 v[219:220], v[183:184], s[28:29]
	v_add_f64 v[197:198], v[201:202], v[197:198]
	v_add_f64 v[144:145], v[150:151], v[144:145]
	v_mul_f64 v[150:151], v[163:164], s[22:23]
	s_delay_alu instid0(VALU_DEP_4)
	v_fma_f64 v[201:202], v[163:164], s[24:25], -v[219:220]
	v_fma_f64 v[221:222], v[163:164], s[24:25], v[219:220]
	v_mul_f64 v[219:220], v[157:158], s[26:27]
	v_mul_f64 v[157:158], v[157:158], s[36:37]
	v_add_f64 v[144:145], v[144:145], v[253:254]
	v_add_f64 v[150:151], v[150:151], -v[171:172]
	v_add_f64 v[201:202], v[201:202], v[199:200]
	v_fma_f64 v[199:200], v[185:186], s[34:35], v[223:224]
	v_add_f64 v[221:222], v[221:222], v[195:196]
	v_fma_f64 v[195:196], v[185:186], s[14:15], v[223:224]
	v_fma_f64 v[237:238], v[122:123], s[24:25], -v[157:158]
	v_fma_f64 v[157:158], v[122:123], s[24:25], v[157:158]
	v_add_f64 v[199:200], v[199:200], v[197:198]
	v_add_f64 v[197:198], v[203:204], v[201:202]
	v_fma_f64 v[203:204], v[122:123], s[22:23], -v[219:220]
	v_add_f64 v[195:196], v[195:196], v[193:194]
	v_fma_f64 v[193:194], v[175:176], s[16:17], v[235:236]
	v_fma_f64 v[201:202], v[146:147], s[26:27], v[207:208]
	v_add_f64 v[209:210], v[237:238], v[209:210]
	v_add_f64 v[157:158], v[157:158], v[247:248]
	;; [unrolled: 1-line block ×3, first 2 shown]
	v_mul_f64 v[211:212], v[152:153], s[24:25]
	v_add_f64 v[193:194], v[193:194], v[221:222]
	v_add_f64 v[201:202], v[201:202], v[245:246]
	v_mul_f64 v[245:246], v[183:184], s[38:39]
	v_mul_f64 v[183:184], v[183:184], s[0:1]
	v_fma_f64 v[221:222], v[154:155], s[36:37], v[211:212]
	s_delay_alu instid0(VALU_DEP_1) | instskip(SKIP_2) | instid1(VALU_DEP_2)
	v_add_f64 v[201:202], v[221:222], v[201:202]
	v_mul_f64 v[221:222], v[169:170], s[36:37]
	v_mul_f64 v[169:170], v[169:170], s[34:35]
	v_fma_f64 v[223:224], v[114:115], s[24:25], -v[221:222]
	s_delay_alu instid0(VALU_DEP_1) | instskip(SKIP_1) | instid1(VALU_DEP_1)
	v_add_f64 v[203:204], v[223:224], v[203:204]
	v_mul_f64 v[223:224], v[165:166], s[20:21]
	v_fma_f64 v[235:236], v[167:168], s[38:39], v[223:224]
	s_delay_alu instid0(VALU_DEP_1) | instskip(SKIP_1) | instid1(VALU_DEP_1)
	v_add_f64 v[201:202], v[235:236], v[201:202]
	v_fma_f64 v[235:236], v[163:164], s[20:21], -v[245:246]
	v_add_f64 v[235:236], v[235:236], v[203:204]
	v_fma_f64 v[203:204], v[185:186], s[40:41], v[225:226]
	s_delay_alu instid0(VALU_DEP_1) | instskip(SKIP_1) | instid1(VALU_DEP_1)
	v_add_f64 v[203:204], v[203:204], v[201:202]
	v_fma_f64 v[201:202], v[175:176], s[12:13], -v[227:228]
	v_add_f64 v[201:202], v[201:202], v[235:236]
	v_fma_f64 v[235:236], v[146:147], s[36:37], v[239:240]
	s_delay_alu instid0(VALU_DEP_1) | instskip(SKIP_1) | instid1(VALU_DEP_1)
	v_add_f64 v[235:236], v[235:236], v[241:242]
	v_mul_f64 v[241:242], v[152:153], s[16:17]
	v_fma_f64 v[237:238], v[154:155], s[34:35], v[241:242]
	s_delay_alu instid0(VALU_DEP_1) | instskip(SKIP_2) | instid1(VALU_DEP_2)
	v_add_f64 v[235:236], v[237:238], v[235:236]
	v_fma_f64 v[237:238], v[114:115], s[16:17], -v[169:170]
	v_fma_f64 v[169:170], v[114:115], s[16:17], v[169:170]
	v_add_f64 v[209:210], v[237:238], v[209:210]
	v_fma_f64 v[237:238], v[167:168], s[0:1], v[229:230]
	s_delay_alu instid0(VALU_DEP_3) | instskip(SKIP_1) | instid1(VALU_DEP_3)
	v_add_f64 v[157:158], v[169:170], v[157:158]
	v_fma_f64 v[169:170], v[167:168], s[40:41], v[229:230]
	v_add_f64 v[235:236], v[237:238], v[235:236]
	v_fma_f64 v[237:238], v[163:164], s[12:13], -v[183:184]
	v_fma_f64 v[183:184], v[163:164], s[12:13], v[183:184]
	s_delay_alu instid0(VALU_DEP_2) | instskip(SKIP_1) | instid1(VALU_DEP_3)
	v_add_f64 v[209:210], v[237:238], v[209:210]
	v_fma_f64 v[237:238], v[185:186], s[26:27], v[231:232]
	v_add_f64 v[157:158], v[183:184], v[157:158]
	v_fma_f64 v[183:184], v[185:186], s[30:31], v[231:232]
	s_delay_alu instid0(VALU_DEP_3) | instskip(SKIP_2) | instid1(VALU_DEP_2)
	v_add_f64 v[237:238], v[237:238], v[235:236]
	v_fma_f64 v[235:236], v[175:176], s[22:23], -v[187:188]
	v_fma_f64 v[187:188], v[175:176], s[22:23], v[187:188]
	v_add_f64 v[235:236], v[235:236], v[209:210]
	v_fma_f64 v[209:210], v[146:147], s[28:29], v[239:240]
	v_fma_f64 v[239:240], v[154:155], s[14:15], v[241:242]
	;; [unrolled: 1-line block ×4, first 2 shown]
	s_delay_alu instid0(VALU_DEP_4) | instskip(NEXT) | instid1(VALU_DEP_3)
	v_add_f64 v[209:210], v[209:210], v[243:244]
	v_add_f64 v[146:147], v[146:147], v[249:250]
	v_dual_mov_b32 v250, v29 :: v_dual_mov_b32 v249, v28
	v_dual_mov_b32 v247, v26 :: v_dual_mov_b32 v248, v27
	s_clause 0x1
	scratch_load_b32 v27, off, off offset:68
	scratch_load_b32 v26, off, off offset:64
	v_add_f64 v[209:210], v[239:240], v[209:210]
	v_add_f64 v[239:240], v[187:188], v[157:158]
	v_fma_f64 v[157:158], v[167:168], s[18:19], v[223:224]
	v_add_f64 v[146:147], v[154:155], v[146:147]
	v_fma_f64 v[154:155], v[114:115], s[24:25], v[221:222]
	v_fma_f64 v[167:168], v[185:186], s[0:1], v[225:226]
	v_dual_mov_b32 v225, v13 :: v_dual_mov_b32 v224, v12
	v_dual_mov_b32 v223, v11 :: v_dual_mov_b32 v222, v10
	v_mov_b32_e32 v12, v218
	v_mul_f64 v[114:115], v[114:115], s[20:21]
	v_add_f64 v[169:170], v[169:170], v[209:210]
	v_add_f64 v[146:147], v[157:158], v[146:147]
	v_fma_f64 v[157:158], v[163:164], s[20:21], v[245:246]
	v_dual_mov_b32 v246, v25 :: v_dual_mov_b32 v245, v24
	v_dual_mov_b32 v244, v23 :: v_dual_mov_b32 v243, v22
	s_clause 0x3
	scratch_load_b32 v25, off, off offset:60
	scratch_load_b32 v24, off, off offset:56
	;; [unrolled: 1-line block ×4, first 2 shown]
	v_add_f64 v[114:115], v[114:115], -v[159:160]
	v_add_f64 v[241:242], v[183:184], v[169:170]
	v_fma_f64 v[169:170], v[122:123], s[22:23], v[219:220]
	v_dual_mov_b32 v221, v9 :: v_dual_mov_b32 v218, v6
	v_dual_mov_b32 v220, v8 :: v_dual_mov_b32 v219, v7
	v_dual_mov_b32 v6, v1 :: v_dual_mov_b32 v1, v3
	v_dual_mov_b32 v8, v18 :: v_dual_mov_b32 v3, v5
	v_dual_mov_b32 v9, v19 :: v_dual_mov_b32 v10, v20
	v_mov_b32_e32 v11, v21
	s_clause 0x2
	scratch_load_b32 v21, off, off offset:40
	scratch_load_b32 v19, off, off offset:36
	;; [unrolled: 1-line block ×3, first 2 shown]
	v_mov_b32_e32 v18, v34
	v_mul_f64 v[122:123], v[122:123], s[16:17]
	v_add_f64 v[169:170], v[169:170], v[251:252]
	v_dual_mov_b32 v254, v33 :: v_dual_mov_b32 v253, v32
	v_dual_mov_b32 v252, v31 :: v_dual_mov_b32 v251, v30
	v_lshlrev_b32_e32 v30, 5, v36
	scratch_load_b32 v31, off, off offset:72 ; 4-byte Folded Reload
	v_add_f64 v[154:155], v[154:155], v[169:170]
	v_add_f64 v[169:170], v[167:168], v[146:147]
	v_mul_f64 v[146:147], v[152:153], s[20:21]
	s_delay_alu instid0(VALU_DEP_3)
	v_add_f64 v[154:155], v[157:158], v[154:155]
	v_fma_f64 v[157:158], v[175:176], s[12:13], v[227:228]
	v_dual_mov_b32 v229, v17 :: v_dual_mov_b32 v226, v14
	v_dual_mov_b32 v228, v16 :: v_dual_mov_b32 v227, v15
	;; [unrolled: 1-line block ×3, first 2 shown]
	v_mov_b32_e32 v14, v35
	scratch_load_b64 v[34:35], off, off offset:76 ; 8-byte Folded Reload
	v_add_f64 v[146:147], v[161:162], v[146:147]
	v_mul_f64 v[148:149], v[165:166], s[22:23]
	v_add_f64 v[167:168], v[157:158], v[154:155]
	s_delay_alu instid0(VALU_DEP_3) | instskip(NEXT) | instid1(VALU_DEP_3)
	v_add_f64 v[144:145], v[146:147], v[144:145]
	v_add_f64 v[148:149], v[173:174], v[148:149]
	v_mul_f64 v[146:147], v[175:176], s[24:25]
	s_delay_alu instid0(VALU_DEP_2) | instskip(NEXT) | instid1(VALU_DEP_2)
	v_add_f64 v[144:145], v[148:149], v[144:145]
	v_add_f64 v[152:153], v[146:147], -v[179:180]
	s_waitcnt vmcnt(0)
	v_add_f64 v[122:123], v[122:123], -v[34:35]
	scratch_load_b64 v[33:34], off, off offset:84 ; 8-byte Folded Reload
	v_add_f64 v[122:123], v[122:123], v[38:39]
	s_delay_alu instid0(VALU_DEP_1) | instskip(SKIP_1) | instid1(VALU_DEP_2)
	v_add_f64 v[114:115], v[114:115], v[122:123]
	v_mul_f64 v[122:123], v[177:178], s[24:25]
	v_add_f64 v[114:115], v[150:151], v[114:115]
	s_delay_alu instid0(VALU_DEP_2) | instskip(NEXT) | instid1(VALU_DEP_1)
	v_add_f64 v[122:123], v[181:182], v[122:123]
	v_add_f64 v[146:147], v[122:123], v[144:145]
	s_delay_alu instid0(VALU_DEP_3)
	v_add_f64 v[144:145], v[152:153], v[114:115]
	s_waitcnt vmcnt(0)
	v_add_f64 v[114:115], v[33:34], v[138:139]
	s_clause 0x1
	scratch_load_b32 v35, off, off offset:44
	scratch_load_b64 v[33:34], off, off offset:92
	v_add_f64 v[114:115], v[114:115], v[134:135]
	s_delay_alu instid0(VALU_DEP_1) | instskip(NEXT) | instid1(VALU_DEP_1)
	v_add_f64 v[114:115], v[114:115], v[142:143]
	v_add_f64 v[114:115], v[114:115], v[120:121]
	s_delay_alu instid0(VALU_DEP_1) | instskip(SKIP_2) | instid1(VALU_DEP_1)
	v_add_f64 v[112:113], v[114:115], v[112:113]
	s_waitcnt vmcnt(0)
	v_add_f64 v[122:123], v[33:34], v[136:137]
	v_add_f64 v[122:123], v[122:123], v[132:133]
	s_delay_alu instid0(VALU_DEP_1) | instskip(NEXT) | instid1(VALU_DEP_1)
	v_add_f64 v[122:123], v[122:123], v[140:141]
	v_add_f64 v[100:101], v[122:123], v[100:101]
	s_delay_alu instid0(VALU_DEP_1) | instskip(SKIP_1) | instid1(VALU_DEP_2)
	v_add_f64 v[100:101], v[100:101], v[102:103]
	v_add_f64 v[102:103], v[112:113], v[118:119]
	v_add_f64 v[100:101], v[100:101], v[116:117]
	s_delay_alu instid0(VALU_DEP_2) | instskip(NEXT) | instid1(VALU_DEP_2)
	v_add_f64 v[102:103], v[102:103], v[110:111]
	v_add_f64 v[100:101], v[100:101], v[108:109]
	s_delay_alu instid0(VALU_DEP_2) | instskip(NEXT) | instid1(VALU_DEP_2)
	v_add_f64 v[102:103], v[102:103], v[126:127]
	v_add_f64 v[100:101], v[100:101], v[124:125]
	s_delay_alu instid0(VALU_DEP_2) | instskip(NEXT) | instid1(VALU_DEP_2)
	v_add_f64 v[102:103], v[102:103], v[106:107]
	v_add_f64 v[100:101], v[100:101], v[104:105]
	v_mul_u32_u24_e32 v104, 0x160, v1
	s_delay_alu instid0(VALU_DEP_1) | instskip(NEXT) | instid1(VALU_DEP_1)
	v_or_b32_e32 v104, v104, v35
	v_lshlrev_b32_e32 v104, 4, v104
	ds_store_b128 v104, v[201:204] offset:1024
	ds_store_b128 v104, v[235:238] offset:1536
	;; [unrolled: 1-line block ×9, first 2 shown]
	ds_store_b128 v104, v[100:103]
	ds_store_b128 v104, v[128:131] offset:5120
.LBB0_5:
	s_or_b32 exec_lo, exec_lo, s33
	v_lshlrev_b32_e32 v96, 6, v20
	s_waitcnt lgkmcnt(0)
	s_waitcnt_vscnt null, 0x0
	s_barrier
	buffer_gl0_inv
	s_mov_b32 s12, 0x134454ff
	v_add_co_u32 v98, s0, s10, v96
	s_delay_alu instid0(VALU_DEP_1) | instskip(SKIP_1) | instid1(VALU_DEP_2)
	v_add_co_ci_u32_e64 v99, null, s11, 0, s0
	s_mov_b32 s13, 0x3fee6f0e
	v_add_co_u32 v96, s0, 0x1000, v98
	s_delay_alu instid0(VALU_DEP_1) | instskip(SKIP_1) | instid1(VALU_DEP_1)
	v_add_co_ci_u32_e64 v97, s0, 0, v99, s0
	v_add_co_u32 v112, s0, 0x15e0, v98
	v_add_co_ci_u32_e64 v113, s0, 0, v99, s0
	global_load_b128 v[96:99], v[96:97], off offset:1504
	ds_load_b128 v[104:107], v206 offset:5632
	ds_load_b128 v[132:135], v206 offset:8448
	s_mov_b32 s15, 0xbfee6f0e
	global_load_b128 v[100:103], v[112:113], off offset:48
	s_mov_b32 s14, s12
	s_mov_b32 s16, 0x372fe950
	s_mov_b32 s17, 0x3fd3c6ef
	s_waitcnt vmcnt(1) lgkmcnt(1)
	v_mul_f64 v[108:109], v[106:107], v[98:99]
	s_delay_alu instid0(VALU_DEP_1) | instskip(SKIP_1) | instid1(VALU_DEP_1)
	v_fma_f64 v[148:149], v[104:105], v[96:97], -v[108:109]
	v_mul_f64 v[104:105], v[104:105], v[98:99]
	v_fma_f64 v[150:151], v[106:107], v[96:97], v[104:105]
	s_clause 0x1
	global_load_b128 v[108:111], v[112:113], off offset:16
	global_load_b128 v[104:107], v[112:113], off offset:32
	ds_load_b128 v[112:115], v206 offset:11264
	ds_load_b128 v[120:123], v206 offset:14080
	s_waitcnt vmcnt(1) lgkmcnt(1)
	v_mul_f64 v[116:117], v[114:115], v[110:111]
	s_delay_alu instid0(VALU_DEP_1) | instskip(SKIP_1) | instid1(VALU_DEP_1)
	v_fma_f64 v[152:153], v[112:113], v[108:109], -v[116:117]
	v_mul_f64 v[112:113], v[112:113], v[110:111]
	v_fma_f64 v[154:155], v[114:115], v[108:109], v[112:113]
	ds_load_b128 v[112:115], v206 offset:16896
	ds_load_b128 v[124:127], v206 offset:19712
	s_waitcnt vmcnt(0) lgkmcnt(1)
	v_mul_f64 v[116:117], v[114:115], v[106:107]
	s_delay_alu instid0(VALU_DEP_1) | instskip(SKIP_1) | instid1(VALU_DEP_2)
	v_fma_f64 v[157:158], v[112:113], v[104:105], -v[116:117]
	v_mul_f64 v[112:113], v[112:113], v[106:107]
	v_add_f64 v[191:192], v[152:153], -v[157:158]
	s_delay_alu instid0(VALU_DEP_2)
	v_fma_f64 v[159:160], v[114:115], v[104:105], v[112:113]
	ds_load_b128 v[112:115], v206 offset:22528
	ds_load_b128 v[136:139], v206 offset:25344
	s_waitcnt lgkmcnt(1)
	v_mul_f64 v[116:117], v[114:115], v[102:103]
	v_add_f64 v[187:188], v[154:155], -v[159:160]
	s_delay_alu instid0(VALU_DEP_2) | instskip(SKIP_1) | instid1(VALU_DEP_2)
	v_fma_f64 v[161:162], v[112:113], v[100:101], -v[116:117]
	v_mul_f64 v[112:113], v[112:113], v[102:103]
	v_add_f64 v[189:190], v[148:149], -v[161:162]
	s_delay_alu instid0(VALU_DEP_2) | instskip(SKIP_1) | instid1(VALU_DEP_1)
	v_fma_f64 v[163:164], v[114:115], v[100:101], v[112:113]
	v_lshlrev_b32_e32 v112, 6, v36
	v_add_co_u32 v144, s0, s10, v112
	s_delay_alu instid0(VALU_DEP_1) | instskip(SKIP_1) | instid1(VALU_DEP_2)
	v_add_co_ci_u32_e64 v145, null, s11, 0, s0
	s_mov_b32 s11, 0xbfe2cf23
	v_add_co_u32 v140, s0, 0x15e0, v144
	s_delay_alu instid0(VALU_DEP_1)
	v_add_co_ci_u32_e64 v141, s0, 0, v145, s0
	s_clause 0x1
	global_load_b128 v[116:119], v[140:141], off offset:16
	global_load_b128 v[112:115], v[140:141], off offset:32
	v_add_f64 v[185:186], v[150:151], -v[163:164]
	s_waitcnt vmcnt(1)
	v_mul_f64 v[142:143], v[122:123], v[118:119]
	s_delay_alu instid0(VALU_DEP_1) | instskip(SKIP_1) | instid1(VALU_DEP_1)
	v_fma_f64 v[165:166], v[120:121], v[116:117], -v[142:143]
	v_mul_f64 v[120:121], v[120:121], v[118:119]
	v_fma_f64 v[167:168], v[122:123], v[116:117], v[120:121]
	s_waitcnt vmcnt(0)
	v_mul_f64 v[120:121], v[126:127], v[114:115]
	s_delay_alu instid0(VALU_DEP_1) | instskip(SKIP_1) | instid1(VALU_DEP_1)
	v_fma_f64 v[169:170], v[124:125], v[112:113], -v[120:121]
	v_mul_f64 v[120:121], v[124:125], v[114:115]
	v_fma_f64 v[171:172], v[126:127], v[112:113], v[120:121]
	v_add_co_u32 v120, s0, 0x1000, v144
	s_delay_alu instid0(VALU_DEP_1)
	v_add_co_ci_u32_e64 v121, s0, 0, v145, s0
	s_clause 0x1
	global_load_b128 v[120:123], v[120:121], off offset:1504
	global_load_b128 v[124:127], v[140:141], off offset:48
	s_mov_b32 s0, 0x4755a5e
	s_mov_b32 s1, 0x3fe2cf23
	;; [unrolled: 1-line block ×3, first 2 shown]
	s_waitcnt vmcnt(1)
	v_mul_f64 v[140:141], v[134:135], v[122:123]
	s_delay_alu instid0(VALU_DEP_1) | instskip(SKIP_2) | instid1(VALU_DEP_2)
	v_fma_f64 v[173:174], v[132:133], v[120:121], -v[140:141]
	v_mul_f64 v[132:133], v[132:133], v[122:123]
	v_add_f64 v[140:141], v[152:153], v[157:158]
	v_fma_f64 v[175:176], v[134:135], v[120:121], v[132:133]
	s_waitcnt vmcnt(0) lgkmcnt(0)
	v_mul_f64 v[132:133], v[138:139], v[126:127]
	v_add_f64 v[134:135], v[161:162], -v[157:158]
	s_delay_alu instid0(VALU_DEP_2) | instskip(SKIP_1) | instid1(VALU_DEP_1)
	v_fma_f64 v[177:178], v[136:137], v[124:125], -v[132:133]
	v_mul_f64 v[132:133], v[136:137], v[126:127]
	v_fma_f64 v[179:180], v[138:139], v[124:125], v[132:133]
	v_add_f64 v[132:133], v[148:149], -v[152:153]
	s_delay_alu instid0(VALU_DEP_1) | instskip(SKIP_2) | instid1(VALU_DEP_1)
	v_add_f64 v[144:145], v[132:133], v[134:135]
	v_add_f64 v[132:133], v[150:151], -v[154:155]
	v_add_f64 v[134:135], v[163:164], -v[159:160]
	v_add_f64 v[146:147], v[132:133], v[134:135]
	ds_load_b128 v[132:135], v206
	ds_load_b128 v[136:139], v206 offset:2816
	s_waitcnt lgkmcnt(1)
	v_fma_f64 v[181:182], v[140:141], -0.5, v[132:133]
	v_add_f64 v[140:141], v[154:155], v[159:160]
	s_delay_alu instid0(VALU_DEP_1) | instskip(NEXT) | instid1(VALU_DEP_3)
	v_fma_f64 v[183:184], v[140:141], -0.5, v[134:135]
	v_fma_f64 v[140:141], v[185:186], s[12:13], v[181:182]
	v_fma_f64 v[181:182], v[185:186], s[14:15], v[181:182]
	s_delay_alu instid0(VALU_DEP_3) | instskip(SKIP_1) | instid1(VALU_DEP_4)
	v_fma_f64 v[142:143], v[189:190], s[14:15], v[183:184]
	v_fma_f64 v[183:184], v[189:190], s[12:13], v[183:184]
	;; [unrolled: 1-line block ×3, first 2 shown]
	s_delay_alu instid0(VALU_DEP_4) | instskip(NEXT) | instid1(VALU_DEP_4)
	v_fma_f64 v[181:182], v[187:188], s[10:11], v[181:182]
	v_fma_f64 v[142:143], v[191:192], s[10:11], v[142:143]
	s_delay_alu instid0(VALU_DEP_4) | instskip(NEXT) | instid1(VALU_DEP_4)
	v_fma_f64 v[183:184], v[191:192], s[0:1], v[183:184]
	v_fma_f64 v[140:141], v[144:145], s[16:17], v[140:141]
	s_delay_alu instid0(VALU_DEP_4) | instskip(SKIP_4) | instid1(VALU_DEP_4)
	v_fma_f64 v[144:145], v[144:145], s[16:17], v[181:182]
	v_add_f64 v[181:182], v[148:149], v[161:162]
	v_fma_f64 v[142:143], v[146:147], s[16:17], v[142:143]
	v_fma_f64 v[146:147], v[146:147], s[16:17], v[183:184]
	v_add_f64 v[183:184], v[150:151], v[163:164]
	v_fma_f64 v[181:182], v[181:182], -0.5, v[132:133]
	v_add_f64 v[132:133], v[132:133], v[148:149]
	v_add_f64 v[148:149], v[152:153], -v[148:149]
	s_delay_alu instid0(VALU_DEP_4) | instskip(SKIP_4) | instid1(VALU_DEP_4)
	v_fma_f64 v[183:184], v[183:184], -0.5, v[134:135]
	v_add_f64 v[134:135], v[134:135], v[150:151]
	v_add_f64 v[150:151], v[154:155], -v[150:151]
	v_add_f64 v[132:133], v[132:133], v[152:153]
	v_add_f64 v[152:153], v[157:158], -v[161:162]
	;; [unrolled: 2-line block ×3, first 2 shown]
	s_delay_alu instid0(VALU_DEP_4)
	v_add_f64 v[132:133], v[132:133], v[157:158]
	v_fma_f64 v[157:158], v[187:188], s[14:15], v[181:182]
	v_add_f64 v[152:153], v[148:149], v[152:153]
	v_add_f64 v[134:135], v[134:135], v[159:160]
	v_fma_f64 v[159:160], v[187:188], s[12:13], v[181:182]
	v_add_f64 v[132:133], v[132:133], v[161:162]
	v_fma_f64 v[161:162], v[191:192], s[12:13], v[183:184]
	;; [unrolled: 2-line block ×3, first 2 shown]
	v_add_f64 v[187:188], v[175:176], -v[179:180]
	v_add_f64 v[134:135], v[134:135], v[163:164]
	v_fma_f64 v[163:164], v[191:192], s[14:15], v[183:184]
	v_fma_f64 v[157:158], v[185:186], s[10:11], v[159:160]
	;; [unrolled: 1-line block ×3, first 2 shown]
	v_add_f64 v[185:186], v[167:168], -v[171:172]
	v_fma_f64 v[148:149], v[152:153], s[16:17], v[148:149]
	v_add_f64 v[191:192], v[173:174], -v[177:178]
	v_fma_f64 v[159:160], v[189:190], s[0:1], v[163:164]
	v_fma_f64 v[152:153], v[152:153], s[16:17], v[157:158]
	;; [unrolled: 1-line block ×3, first 2 shown]
	v_add_f64 v[157:158], v[165:166], -v[173:174]
	v_add_f64 v[189:190], v[165:166], -v[169:170]
	v_fma_f64 v[154:155], v[154:155], s[16:17], v[159:160]
	v_add_f64 v[159:160], v[169:170], -v[177:178]
	s_delay_alu instid0(VALU_DEP_1) | instskip(SKIP_2) | instid1(VALU_DEP_1)
	v_add_f64 v[161:162], v[157:158], v[159:160]
	v_add_f64 v[157:158], v[167:168], -v[175:176]
	v_add_f64 v[159:160], v[171:172], -v[179:180]
	v_add_f64 v[163:164], v[157:158], v[159:160]
	v_add_f64 v[157:158], v[173:174], v[177:178]
	s_waitcnt lgkmcnt(0)
	s_delay_alu instid0(VALU_DEP_1) | instskip(SKIP_1) | instid1(VALU_DEP_1)
	v_fma_f64 v[181:182], v[157:158], -0.5, v[136:137]
	v_add_f64 v[157:158], v[175:176], v[179:180]
	v_fma_f64 v[183:184], v[157:158], -0.5, v[138:139]
	s_delay_alu instid0(VALU_DEP_3) | instskip(SKIP_1) | instid1(VALU_DEP_3)
	v_fma_f64 v[157:158], v[185:186], s[14:15], v[181:182]
	v_fma_f64 v[181:182], v[185:186], s[12:13], v[181:182]
	;; [unrolled: 1-line block ×4, first 2 shown]
	s_delay_alu instid0(VALU_DEP_4) | instskip(NEXT) | instid1(VALU_DEP_4)
	v_fma_f64 v[157:158], v[187:188], s[0:1], v[157:158]
	v_fma_f64 v[181:182], v[187:188], s[10:11], v[181:182]
	s_delay_alu instid0(VALU_DEP_4) | instskip(NEXT) | instid1(VALU_DEP_4)
	v_fma_f64 v[159:160], v[191:192], s[10:11], v[159:160]
	v_fma_f64 v[183:184], v[191:192], s[0:1], v[183:184]
	;; [unrolled: 3-line block ×3, first 2 shown]
	v_add_f64 v[181:182], v[165:166], v[169:170]
	v_fma_f64 v[159:160], v[163:164], s[16:17], v[159:160]
	v_fma_f64 v[163:164], v[163:164], s[16:17], v[183:184]
	v_add_f64 v[183:184], v[167:168], v[171:172]
	s_delay_alu instid0(VALU_DEP_4) | instskip(SKIP_2) | instid1(VALU_DEP_4)
	v_fma_f64 v[181:182], v[181:182], -0.5, v[136:137]
	v_add_f64 v[136:137], v[136:137], v[173:174]
	v_add_f64 v[173:174], v[173:174], -v[165:166]
	v_fma_f64 v[183:184], v[183:184], -0.5, v[138:139]
	v_add_f64 v[138:139], v[138:139], v[175:176]
	s_delay_alu instid0(VALU_DEP_4) | instskip(SKIP_2) | instid1(VALU_DEP_4)
	v_add_f64 v[136:137], v[136:137], v[165:166]
	v_add_f64 v[165:166], v[175:176], -v[167:168]
	v_fma_f64 v[175:176], v[187:188], s[14:15], v[181:182]
	v_add_f64 v[138:139], v[138:139], v[167:168]
	v_add_f64 v[167:168], v[177:178], -v[169:170]
	v_add_f64 v[136:137], v[136:137], v[169:170]
	v_add_f64 v[169:170], v[179:180], -v[171:172]
	s_delay_alu instid0(VALU_DEP_4) | instskip(SKIP_1) | instid1(VALU_DEP_4)
	v_add_f64 v[138:139], v[138:139], v[171:172]
	v_fma_f64 v[171:172], v[187:188], s[12:13], v[181:182]
	v_add_f64 v[136:137], v[136:137], v[177:178]
	v_fma_f64 v[177:178], v[191:192], s[14:15], v[183:184]
	v_add_f64 v[173:174], v[173:174], v[167:168]
	v_add_f64 v[181:182], v[165:166], v[169:170]
	v_fma_f64 v[169:170], v[185:186], s[10:11], v[175:176]
	v_add_f64 v[138:139], v[138:139], v[179:180]
	v_fma_f64 v[179:180], v[191:192], s[12:13], v[183:184]
	v_fma_f64 v[165:166], v[185:186], s[0:1], v[171:172]
	v_fma_f64 v[167:168], v[189:190], s[10:11], v[177:178]
	v_fma_f64 v[169:170], v[173:174], s[16:17], v[169:170]
	s_delay_alu instid0(VALU_DEP_4) | instskip(NEXT) | instid1(VALU_DEP_4)
	v_fma_f64 v[171:172], v[189:190], s[0:1], v[179:180]
	v_fma_f64 v[165:166], v[173:174], s[16:17], v[165:166]
	s_delay_alu instid0(VALU_DEP_4) | instskip(NEXT) | instid1(VALU_DEP_3)
	v_fma_f64 v[167:168], v[181:182], s[16:17], v[167:168]
	v_fma_f64 v[171:172], v[181:182], s[16:17], v[171:172]
	ds_store_b128 v206, v[132:135]
	ds_store_b128 v206, v[136:139] offset:2816
	ds_store_b128 v206, v[140:143] offset:5632
	;; [unrolled: 1-line block ×9, first 2 shown]
	v_lshlrev_b32_e32 v132, 4, v20
	s_waitcnt lgkmcnt(0)
	s_barrier
	buffer_gl0_inv
	v_add_co_u32 v181, s0, s8, v132
	s_delay_alu instid0(VALU_DEP_1) | instskip(NEXT) | instid1(VALU_DEP_2)
	v_add_co_ci_u32_e64 v182, null, s9, 0, s0
	v_add_co_u32 v132, s0, 0x6000, v181
	s_delay_alu instid0(VALU_DEP_1) | instskip(SKIP_1) | instid1(VALU_DEP_1)
	v_add_co_ci_u32_e64 v133, s0, 0, v182, s0
	v_add_co_u32 v136, s0, 0x6e00, v181
	v_add_co_ci_u32_e64 v137, s0, 0, v182, s0
	s_clause 0x1
	global_load_b128 v[132:135], v[132:133], off offset:3584
	global_load_b128 v[136:139], v[136:137], off offset:2816
	ds_load_b128 v[140:143], v206
	ds_load_b128 v[144:147], v206 offset:2816
	s_waitcnt vmcnt(1) lgkmcnt(1)
	v_mul_f64 v[148:149], v[142:143], v[134:135]
	v_mul_f64 v[134:135], v[140:141], v[134:135]
	s_delay_alu instid0(VALU_DEP_2) | instskip(NEXT) | instid1(VALU_DEP_2)
	v_fma_f64 v[140:141], v[140:141], v[132:133], -v[148:149]
	v_fma_f64 v[142:143], v[142:143], v[132:133], v[134:135]
	v_add_co_u32 v132, s0, 0xa000, v181
	s_delay_alu instid0(VALU_DEP_1) | instskip(SKIP_1) | instid1(VALU_DEP_1)
	v_add_co_ci_u32_e64 v133, s0, 0, v182, s0
	v_add_co_u32 v161, s0, 0xb000, v181
	v_add_co_ci_u32_e64 v162, s0, 0, v182, s0
	s_clause 0x1
	global_load_b128 v[132:135], v[132:133], off offset:1280
	global_load_b128 v[148:151], v[161:162], off
	ds_load_b128 v[152:155], v206 offset:14080
	ds_load_b128 v[157:160], v206 offset:11264
	v_add_co_u32 v173, s0, 0x8000, v181
	s_delay_alu instid0(VALU_DEP_1) | instskip(SKIP_3) | instid1(VALU_DEP_2)
	v_add_co_ci_u32_e64 v174, s0, 0, v182, s0
	s_waitcnt vmcnt(1) lgkmcnt(1)
	v_mul_f64 v[163:164], v[154:155], v[134:135]
	v_mul_f64 v[134:135], v[152:153], v[134:135]
	v_fma_f64 v[152:153], v[152:153], v[132:133], -v[163:164]
	s_delay_alu instid0(VALU_DEP_2) | instskip(SKIP_2) | instid1(VALU_DEP_2)
	v_fma_f64 v[154:155], v[154:155], v[132:133], v[134:135]
	v_mul_f64 v[132:133], v[146:147], v[138:139]
	v_mul_f64 v[134:135], v[144:145], v[138:139]
	v_fma_f64 v[132:133], v[144:145], v[136:137], -v[132:133]
	s_delay_alu instid0(VALU_DEP_2)
	v_fma_f64 v[134:135], v[146:147], v[136:137], v[134:135]
	ds_load_b128 v[136:139], v206 offset:16896
	ds_load_b128 v[144:147], v206 offset:19712
	s_waitcnt vmcnt(0) lgkmcnt(1)
	v_mul_f64 v[163:164], v[138:139], v[150:151]
	v_mul_f64 v[150:151], v[136:137], v[150:151]
	s_delay_alu instid0(VALU_DEP_2) | instskip(NEXT) | instid1(VALU_DEP_2)
	v_fma_f64 v[136:137], v[136:137], v[148:149], -v[163:164]
	v_fma_f64 v[138:139], v[138:139], v[148:149], v[150:151]
	s_clause 0x1
	global_load_b128 v[148:151], v[161:162], off offset:2816
	global_load_b128 v[161:164], v[173:174], off offset:1024
	ds_load_b128 v[165:168], v206 offset:5632
	ds_load_b128 v[169:172], v206 offset:8448
	s_waitcnt vmcnt(0) lgkmcnt(1)
	v_mul_f64 v[175:176], v[167:168], v[163:164]
	v_mul_f64 v[177:178], v[165:166], v[163:164]
	s_delay_alu instid0(VALU_DEP_2) | instskip(NEXT) | instid1(VALU_DEP_2)
	v_fma_f64 v[163:164], v[165:166], v[161:162], -v[175:176]
	v_fma_f64 v[165:166], v[167:168], v[161:162], v[177:178]
	v_mul_f64 v[161:162], v[146:147], v[150:151]
	v_mul_f64 v[150:151], v[144:145], v[150:151]
	s_delay_alu instid0(VALU_DEP_2) | instskip(SKIP_1) | instid1(VALU_DEP_1)
	v_fma_f64 v[144:145], v[144:145], v[148:149], -v[161:162]
	v_add_co_u32 v161, s0, 0xc000, v181
	v_add_co_ci_u32_e64 v162, s0, 0, v182, s0
	s_delay_alu instid0(VALU_DEP_4)
	v_fma_f64 v[146:147], v[146:147], v[148:149], v[150:151]
	s_clause 0x1
	global_load_b128 v[148:151], v[173:174], off offset:3840
	global_load_b128 v[173:176], v[161:162], off offset:1536
	s_waitcnt vmcnt(1) lgkmcnt(0)
	v_mul_f64 v[161:162], v[171:172], v[150:151]
	v_mul_f64 v[150:151], v[169:170], v[150:151]
	s_delay_alu instid0(VALU_DEP_2) | instskip(NEXT) | instid1(VALU_DEP_2)
	v_fma_f64 v[167:168], v[169:170], v[148:149], -v[161:162]
	v_fma_f64 v[169:170], v[171:172], v[148:149], v[150:151]
	ds_load_b128 v[148:151], v206 offset:22528
	ds_load_b128 v[177:180], v206 offset:25344
	s_waitcnt vmcnt(0) lgkmcnt(1)
	v_mul_f64 v[161:162], v[150:151], v[175:176]
	v_mul_f64 v[171:172], v[148:149], v[175:176]
	s_delay_alu instid0(VALU_DEP_2) | instskip(SKIP_1) | instid1(VALU_DEP_1)
	v_fma_f64 v[148:149], v[148:149], v[173:174], -v[161:162]
	v_add_co_u32 v161, s0, 0x9000, v181
	v_add_co_ci_u32_e64 v162, s0, 0, v182, s0
	v_add_co_u32 v175, s0, 0xd000, v181
	s_delay_alu instid0(VALU_DEP_1)
	v_add_co_ci_u32_e64 v176, s0, 0, v182, s0
	v_fma_f64 v[150:151], v[150:151], v[173:174], v[171:172]
	s_clause 0x1
	global_load_b128 v[171:174], v[161:162], off offset:2560
	global_load_b128 v[181:184], v[175:176], off offset:256
	s_waitcnt vmcnt(1)
	v_mul_f64 v[161:162], v[159:160], v[173:174]
	v_mul_f64 v[173:174], v[157:158], v[173:174]
	s_delay_alu instid0(VALU_DEP_2) | instskip(NEXT) | instid1(VALU_DEP_2)
	v_fma_f64 v[157:158], v[157:158], v[171:172], -v[161:162]
	v_fma_f64 v[159:160], v[159:160], v[171:172], v[173:174]
	s_waitcnt vmcnt(0) lgkmcnt(0)
	v_mul_f64 v[161:162], v[179:180], v[183:184]
	v_mul_f64 v[173:174], v[177:178], v[183:184]
	s_delay_alu instid0(VALU_DEP_2) | instskip(NEXT) | instid1(VALU_DEP_2)
	v_fma_f64 v[171:172], v[177:178], v[181:182], -v[161:162]
	v_fma_f64 v[173:174], v[179:180], v[181:182], v[173:174]
	ds_store_b128 v206, v[140:143]
	ds_store_b128 v206, v[132:135] offset:2816
	ds_store_b128 v206, v[136:139] offset:16896
	;; [unrolled: 1-line block ×9, first 2 shown]
	s_waitcnt lgkmcnt(0)
	s_barrier
	buffer_gl0_inv
	ds_load_b128 v[132:135], v206 offset:14080
	ds_load_b128 v[136:139], v206
	ds_load_b128 v[140:143], v206 offset:2816
	ds_load_b128 v[144:147], v206 offset:11264
	;; [unrolled: 1-line block ×8, first 2 shown]
	s_waitcnt lgkmcnt(0)
	s_barrier
	buffer_gl0_inv
	v_add_f64 v[132:133], v[136:137], -v[132:133]
	v_add_f64 v[134:135], v[138:139], -v[134:135]
	s_delay_alu instid0(VALU_DEP_2) | instskip(NEXT) | instid1(VALU_DEP_2)
	v_fma_f64 v[136:137], v[136:137], 2.0, -v[132:133]
	v_fma_f64 v[138:139], v[138:139], 2.0, -v[134:135]
	ds_store_b128 v6, v[132:135] offset:16
	ds_store_b128 v6, v[136:139]
	v_add_f64 v[132:133], v[140:141], -v[148:149]
	v_add_f64 v[134:135], v[142:143], -v[150:151]
	s_delay_alu instid0(VALU_DEP_2) | instskip(NEXT) | instid1(VALU_DEP_2)
	v_fma_f64 v[136:137], v[140:141], 2.0, -v[132:133]
	v_fma_f64 v[138:139], v[142:143], 2.0, -v[134:135]
	ds_store_b128 v30, v[136:139]
	ds_store_b128 v30, v[132:135] offset:16
	v_add_f64 v[132:133], v[157:158], -v[152:153]
	v_add_f64 v[134:135], v[159:160], -v[154:155]
	s_delay_alu instid0(VALU_DEP_2) | instskip(NEXT) | instid1(VALU_DEP_2)
	v_fma_f64 v[136:137], v[157:158], 2.0, -v[132:133]
	v_fma_f64 v[138:139], v[159:160], 2.0, -v[134:135]
	ds_store_b128 v27, v[136:139]
	ds_store_b128 v27, v[132:135] offset:16
	;; [unrolled: 7-line block ×4, first 2 shown]
	s_waitcnt lgkmcnt(0)
	s_barrier
	buffer_gl0_inv
	ds_load_b128 v[132:135], v206 offset:14080
	ds_load_b128 v[136:139], v206 offset:11264
	s_waitcnt lgkmcnt(1)
	v_mul_f64 v[140:141], v[58:59], v[134:135]
	s_delay_alu instid0(VALU_DEP_1) | instskip(SKIP_1) | instid1(VALU_DEP_1)
	v_fma_f64 v[144:145], v[56:57], v[132:133], v[140:141]
	v_mul_f64 v[132:133], v[58:59], v[132:133]
	v_fma_f64 v[146:147], v[56:57], v[134:135], -v[132:133]
	ds_load_b128 v[132:135], v206 offset:16896
	ds_load_b128 v[140:143], v206 offset:19712
	s_waitcnt lgkmcnt(1)
	v_mul_f64 v[148:149], v[58:59], v[134:135]
	s_delay_alu instid0(VALU_DEP_1) | instskip(SKIP_1) | instid1(VALU_DEP_1)
	v_fma_f64 v[152:153], v[56:57], v[132:133], v[148:149]
	v_mul_f64 v[132:133], v[58:59], v[132:133]
	v_fma_f64 v[154:155], v[56:57], v[134:135], -v[132:133]
	s_waitcnt lgkmcnt(0)
	v_mul_f64 v[132:133], v[58:59], v[142:143]
	s_delay_alu instid0(VALU_DEP_1) | instskip(SKIP_1) | instid1(VALU_DEP_1)
	v_fma_f64 v[157:158], v[56:57], v[140:141], v[132:133]
	v_mul_f64 v[132:133], v[58:59], v[140:141]
	v_fma_f64 v[159:160], v[56:57], v[142:143], -v[132:133]
	ds_load_b128 v[132:135], v206 offset:22528
	ds_load_b128 v[140:143], v206 offset:25344
	s_waitcnt lgkmcnt(1)
	v_mul_f64 v[148:149], v[58:59], v[134:135]
	s_delay_alu instid0(VALU_DEP_1) | instskip(SKIP_1) | instid1(VALU_DEP_1)
	v_fma_f64 v[161:162], v[56:57], v[132:133], v[148:149]
	v_mul_f64 v[132:133], v[58:59], v[132:133]
	v_fma_f64 v[163:164], v[56:57], v[134:135], -v[132:133]
	s_waitcnt lgkmcnt(0)
	v_mul_f64 v[132:133], v[58:59], v[142:143]
	v_mul_f64 v[58:59], v[58:59], v[140:141]
	s_delay_alu instid0(VALU_DEP_2) | instskip(NEXT) | instid1(VALU_DEP_2)
	v_fma_f64 v[165:166], v[56:57], v[140:141], v[132:133]
	v_fma_f64 v[167:168], v[56:57], v[142:143], -v[58:59]
	ds_load_b128 v[56:59], v206
	ds_load_b128 v[132:135], v206 offset:2816
	s_waitcnt lgkmcnt(1)
	v_add_f64 v[140:141], v[56:57], -v[144:145]
	v_add_f64 v[142:143], v[58:59], -v[146:147]
	ds_load_b128 v[144:147], v206 offset:5632
	ds_load_b128 v[148:151], v206 offset:8448
	s_waitcnt lgkmcnt(0)
	s_barrier
	buffer_gl0_inv
	v_fma_f64 v[56:57], v[56:57], 2.0, -v[140:141]
	v_fma_f64 v[58:59], v[58:59], 2.0, -v[142:143]
	ds_store_b128 v31, v[140:143] offset:32
	ds_store_b128 v31, v[56:59]
	v_add_f64 v[56:57], v[132:133], -v[152:153]
	v_add_f64 v[58:59], v[134:135], -v[154:155]
	s_delay_alu instid0(VALU_DEP_2) | instskip(NEXT) | instid1(VALU_DEP_2)
	v_fma_f64 v[132:133], v[132:133], 2.0, -v[56:57]
	v_fma_f64 v[134:135], v[134:135], 2.0, -v[58:59]
	ds_store_b128 v234, v[132:135]
	ds_store_b128 v234, v[56:59] offset:32
	v_add_f64 v[56:57], v[144:145], -v[157:158]
	v_add_f64 v[58:59], v[146:147], -v[159:160]
	s_delay_alu instid0(VALU_DEP_2) | instskip(NEXT) | instid1(VALU_DEP_2)
	v_fma_f64 v[132:133], v[144:145], 2.0, -v[56:57]
	v_fma_f64 v[134:135], v[146:147], 2.0, -v[58:59]
	ds_store_b128 v24, v[132:135]
	ds_store_b128 v24, v[56:59] offset:32
	;; [unrolled: 7-line block ×4, first 2 shown]
	s_waitcnt lgkmcnt(0)
	s_barrier
	buffer_gl0_inv
	ds_load_b128 v[56:59], v206 offset:14080
	ds_load_b128 v[132:135], v206 offset:11264
	s_waitcnt lgkmcnt(1)
	v_mul_f64 v[136:137], v[54:55], v[58:59]
	s_delay_alu instid0(VALU_DEP_1) | instskip(SKIP_1) | instid1(VALU_DEP_1)
	v_fma_f64 v[140:141], v[52:53], v[56:57], v[136:137]
	v_mul_f64 v[56:57], v[54:55], v[56:57]
	v_fma_f64 v[142:143], v[52:53], v[58:59], -v[56:57]
	ds_load_b128 v[56:59], v206 offset:16896
	ds_load_b128 v[136:139], v206 offset:19712
	s_waitcnt lgkmcnt(1)
	v_mul_f64 v[144:145], v[54:55], v[58:59]
	s_delay_alu instid0(VALU_DEP_1) | instskip(SKIP_1) | instid1(VALU_DEP_1)
	v_fma_f64 v[148:149], v[52:53], v[56:57], v[144:145]
	v_mul_f64 v[56:57], v[54:55], v[56:57]
	v_fma_f64 v[150:151], v[52:53], v[58:59], -v[56:57]
	s_waitcnt lgkmcnt(0)
	v_mul_f64 v[56:57], v[54:55], v[138:139]
	s_delay_alu instid0(VALU_DEP_1) | instskip(SKIP_1) | instid1(VALU_DEP_1)
	v_fma_f64 v[152:153], v[52:53], v[136:137], v[56:57]
	v_mul_f64 v[56:57], v[54:55], v[136:137]
	v_fma_f64 v[154:155], v[52:53], v[138:139], -v[56:57]
	ds_load_b128 v[56:59], v206 offset:22528
	ds_load_b128 v[136:139], v206 offset:25344
	s_waitcnt lgkmcnt(1)
	v_mul_f64 v[144:145], v[54:55], v[58:59]
	s_delay_alu instid0(VALU_DEP_1) | instskip(SKIP_1) | instid1(VALU_DEP_1)
	v_fma_f64 v[157:158], v[52:53], v[56:57], v[144:145]
	v_mul_f64 v[56:57], v[54:55], v[56:57]
	v_fma_f64 v[159:160], v[52:53], v[58:59], -v[56:57]
	s_waitcnt lgkmcnt(0)
	v_mul_f64 v[56:57], v[54:55], v[138:139]
	v_mul_f64 v[54:55], v[54:55], v[136:137]
	s_delay_alu instid0(VALU_DEP_2) | instskip(NEXT) | instid1(VALU_DEP_2)
	v_fma_f64 v[161:162], v[52:53], v[136:137], v[56:57]
	v_fma_f64 v[163:164], v[52:53], v[138:139], -v[54:55]
	ds_load_b128 v[52:55], v206
	ds_load_b128 v[56:59], v206 offset:2816
	s_waitcnt lgkmcnt(1)
	v_add_f64 v[136:137], v[52:53], -v[140:141]
	v_add_f64 v[138:139], v[54:55], -v[142:143]
	ds_load_b128 v[140:143], v206 offset:5632
	ds_load_b128 v[144:147], v206 offset:8448
	s_waitcnt lgkmcnt(0)
	s_barrier
	buffer_gl0_inv
	v_fma_f64 v[52:53], v[52:53], 2.0, -v[136:137]
	v_fma_f64 v[54:55], v[54:55], 2.0, -v[138:139]
	ds_store_b128 v213, v[136:139] offset:64
	ds_store_b128 v213, v[52:55]
	v_add_f64 v[52:53], v[56:57], -v[148:149]
	v_add_f64 v[54:55], v[58:59], -v[150:151]
	s_delay_alu instid0(VALU_DEP_2) | instskip(NEXT) | instid1(VALU_DEP_2)
	v_fma_f64 v[56:57], v[56:57], 2.0, -v[52:53]
	v_fma_f64 v[58:59], v[58:59], 2.0, -v[54:55]
	ds_store_b128 v25, v[56:59]
	ds_store_b128 v25, v[52:55] offset:64
	v_add_f64 v[52:53], v[140:141], -v[152:153]
	v_add_f64 v[54:55], v[142:143], -v[154:155]
	s_delay_alu instid0(VALU_DEP_2) | instskip(NEXT) | instid1(VALU_DEP_2)
	v_fma_f64 v[56:57], v[140:141], 2.0, -v[52:53]
	v_fma_f64 v[58:59], v[142:143], 2.0, -v[54:55]
	ds_store_b128 v21, v[56:59]
	ds_store_b128 v21, v[52:55] offset:64
	;; [unrolled: 7-line block ×4, first 2 shown]
	s_waitcnt lgkmcnt(0)
	s_barrier
	buffer_gl0_inv
	ds_load_b128 v[52:55], v206 offset:14080
	ds_load_b128 v[56:59], v206 offset:11264
	s_waitcnt lgkmcnt(1)
	v_mul_f64 v[132:133], v[50:51], v[54:55]
	s_delay_alu instid0(VALU_DEP_1) | instskip(SKIP_1) | instid1(VALU_DEP_1)
	v_fma_f64 v[136:137], v[48:49], v[52:53], v[132:133]
	v_mul_f64 v[52:53], v[50:51], v[52:53]
	v_fma_f64 v[138:139], v[48:49], v[54:55], -v[52:53]
	ds_load_b128 v[52:55], v206 offset:16896
	ds_load_b128 v[132:135], v206 offset:19712
	s_waitcnt lgkmcnt(1)
	v_mul_f64 v[140:141], v[50:51], v[54:55]
	s_delay_alu instid0(VALU_DEP_1) | instskip(SKIP_1) | instid1(VALU_DEP_1)
	v_fma_f64 v[144:145], v[48:49], v[52:53], v[140:141]
	v_mul_f64 v[52:53], v[50:51], v[52:53]
	v_fma_f64 v[146:147], v[48:49], v[54:55], -v[52:53]
	s_waitcnt lgkmcnt(0)
	v_mul_f64 v[52:53], v[50:51], v[134:135]
	s_delay_alu instid0(VALU_DEP_1) | instskip(SKIP_1) | instid1(VALU_DEP_1)
	v_fma_f64 v[148:149], v[48:49], v[132:133], v[52:53]
	v_mul_f64 v[52:53], v[50:51], v[132:133]
	v_fma_f64 v[150:151], v[48:49], v[134:135], -v[52:53]
	ds_load_b128 v[52:55], v206 offset:22528
	ds_load_b128 v[132:135], v206 offset:25344
	s_waitcnt lgkmcnt(1)
	v_mul_f64 v[140:141], v[50:51], v[54:55]
	s_delay_alu instid0(VALU_DEP_1) | instskip(SKIP_1) | instid1(VALU_DEP_1)
	v_fma_f64 v[152:153], v[48:49], v[52:53], v[140:141]
	v_mul_f64 v[52:53], v[50:51], v[52:53]
	v_fma_f64 v[154:155], v[48:49], v[54:55], -v[52:53]
	s_waitcnt lgkmcnt(0)
	v_mul_f64 v[52:53], v[50:51], v[134:135]
	v_mul_f64 v[50:51], v[50:51], v[132:133]
	s_delay_alu instid0(VALU_DEP_2) | instskip(NEXT) | instid1(VALU_DEP_2)
	v_fma_f64 v[157:158], v[48:49], v[132:133], v[52:53]
	v_fma_f64 v[159:160], v[48:49], v[134:135], -v[50:51]
	ds_load_b128 v[48:51], v206
	ds_load_b128 v[52:55], v206 offset:2816
	s_waitcnt lgkmcnt(1)
	v_add_f64 v[132:133], v[48:49], -v[136:137]
	v_add_f64 v[134:135], v[50:51], -v[138:139]
	ds_load_b128 v[136:139], v206 offset:5632
	ds_load_b128 v[140:143], v206 offset:8448
	s_waitcnt lgkmcnt(0)
	s_barrier
	buffer_gl0_inv
	v_fma_f64 v[48:49], v[48:49], 2.0, -v[132:133]
	v_fma_f64 v[50:51], v[50:51], 2.0, -v[134:135]
	ds_store_b128 v26, v[132:135] offset:128
	ds_store_b128 v26, v[48:51]
	v_add_f64 v[48:49], v[52:53], -v[144:145]
	v_add_f64 v[50:51], v[54:55], -v[146:147]
	s_delay_alu instid0(VALU_DEP_2) | instskip(NEXT) | instid1(VALU_DEP_2)
	v_fma_f64 v[52:53], v[52:53], 2.0, -v[48:49]
	v_fma_f64 v[54:55], v[54:55], 2.0, -v[50:51]
	ds_store_b128 v22, v[52:55]
	ds_store_b128 v22, v[48:51] offset:128
	v_add_f64 v[48:49], v[136:137], -v[148:149]
	v_add_f64 v[50:51], v[138:139], -v[150:151]
	s_delay_alu instid0(VALU_DEP_2) | instskip(NEXT) | instid1(VALU_DEP_2)
	v_fma_f64 v[52:53], v[136:137], 2.0, -v[48:49]
	v_fma_f64 v[54:55], v[138:139], 2.0, -v[50:51]
	ds_store_b128 v16, v[52:55]
	ds_store_b128 v16, v[48:51] offset:128
	;; [unrolled: 7-line block ×4, first 2 shown]
	s_waitcnt lgkmcnt(0)
	s_barrier
	buffer_gl0_inv
	ds_load_b128 v[48:51], v206 offset:14080
	ds_load_b128 v[152:155], v206 offset:11264
	s_waitcnt lgkmcnt(1)
	v_mul_f64 v[52:53], v[42:43], v[50:51]
	s_delay_alu instid0(VALU_DEP_1) | instskip(SKIP_1) | instid1(VALU_DEP_1)
	v_fma_f64 v[56:57], v[40:41], v[48:49], v[52:53]
	v_mul_f64 v[48:49], v[42:43], v[48:49]
	v_fma_f64 v[58:59], v[40:41], v[50:51], -v[48:49]
	ds_load_b128 v[48:51], v206 offset:16896
	ds_load_b128 v[52:55], v206 offset:19712
	s_waitcnt lgkmcnt(1)
	v_mul_f64 v[132:133], v[42:43], v[50:51]
	s_delay_alu instid0(VALU_DEP_1) | instskip(SKIP_1) | instid1(VALU_DEP_1)
	v_fma_f64 v[132:133], v[40:41], v[48:49], v[132:133]
	v_mul_f64 v[48:49], v[42:43], v[48:49]
	v_fma_f64 v[134:135], v[40:41], v[50:51], -v[48:49]
	s_waitcnt lgkmcnt(0)
	v_mul_f64 v[48:49], v[42:43], v[54:55]
	s_delay_alu instid0(VALU_DEP_1) | instskip(SKIP_1) | instid1(VALU_DEP_1)
	v_fma_f64 v[136:137], v[40:41], v[52:53], v[48:49]
	v_mul_f64 v[48:49], v[42:43], v[52:53]
	v_fma_f64 v[138:139], v[40:41], v[54:55], -v[48:49]
	ds_load_b128 v[48:51], v206 offset:22528
	ds_load_b128 v[52:55], v206 offset:25344
	s_waitcnt lgkmcnt(1)
	v_mul_f64 v[140:141], v[42:43], v[50:51]
	s_delay_alu instid0(VALU_DEP_1) | instskip(SKIP_1) | instid1(VALU_DEP_1)
	v_fma_f64 v[140:141], v[40:41], v[48:49], v[140:141]
	v_mul_f64 v[48:49], v[42:43], v[48:49]
	v_fma_f64 v[142:143], v[40:41], v[50:51], -v[48:49]
	s_waitcnt lgkmcnt(0)
	v_mul_f64 v[48:49], v[42:43], v[54:55]
	v_mul_f64 v[42:43], v[42:43], v[52:53]
	s_delay_alu instid0(VALU_DEP_2) | instskip(NEXT) | instid1(VALU_DEP_2)
	v_fma_f64 v[148:149], v[40:41], v[52:53], v[48:49]
	v_fma_f64 v[150:151], v[40:41], v[54:55], -v[42:43]
	ds_load_b128 v[40:43], v206
	ds_load_b128 v[48:51], v206 offset:2816
	s_waitcnt lgkmcnt(1)
	v_add_f64 v[56:57], v[40:41], -v[56:57]
	s_waitcnt lgkmcnt(0)
	v_add_f64 v[52:53], v[48:49], -v[132:133]
	v_add_f64 v[54:55], v[50:51], -v[134:135]
	ds_load_b128 v[132:135], v206 offset:5632
	ds_load_b128 v[144:147], v206 offset:8448
	v_add_f64 v[58:59], v[42:43], -v[58:59]
	s_waitcnt lgkmcnt(0)
	s_barrier
	buffer_gl0_inv
	v_add_f64 v[148:149], v[152:153], -v[148:149]
	v_add_f64 v[150:151], v[154:155], -v[150:151]
	;; [unrolled: 1-line block ×6, first 2 shown]
	v_fma_f64 v[40:41], v[40:41], 2.0, -v[56:57]
	v_fma_f64 v[48:49], v[48:49], 2.0, -v[52:53]
	;; [unrolled: 1-line block ×10, first 2 shown]
	ds_store_b128 v4, v[56:59] offset:256
	ds_store_b128 v4, v[40:43]
	ds_store_b128 v255, v[48:51]
	ds_store_b128 v255, v[52:55] offset:256
	ds_store_b128 v3, v[132:135]
	ds_store_b128 v3, v[136:139] offset:256
	;; [unrolled: 2-line block ×4, first 2 shown]
	s_waitcnt lgkmcnt(0)
	s_barrier
	buffer_gl0_inv
	s_and_saveexec_b32 s0, vcc_lo
	s_cbranch_execz .LBB0_7
; %bb.6:
	ds_load_b128 v[40:43], v206
	ds_load_b128 v[56:59], v206 offset:2560
	ds_load_b128 v[48:51], v206 offset:5120
	;; [unrolled: 1-line block ×10, first 2 shown]
.LBB0_7:
	s_or_b32 exec_lo, exec_lo, s0
	s_waitcnt lgkmcnt(0)
	s_barrier
	buffer_gl0_inv
	s_and_saveexec_b32 s30, vcc_lo
	s_cbranch_execz .LBB0_9
; %bb.8:
	v_mul_f64 v[157:158], v[46:47], v[56:57]
	v_mul_f64 v[46:47], v[46:47], v[58:59]
	s_mov_b32 s25, 0x3fed1bb4
	s_mov_b32 s24, 0x8eee2c13
	;; [unrolled: 1-line block ×26, first 2 shown]
	s_delay_alu instid0(VALU_DEP_2) | instskip(NEXT) | instid1(VALU_DEP_2)
	v_fma_f64 v[157:158], v[44:45], v[58:59], -v[157:158]
	v_fma_f64 v[159:160], v[44:45], v[56:57], v[46:47]
	v_mul_f64 v[46:47], v[94:95], v[136:137]
	v_mul_f64 v[58:59], v[90:91], v[144:145]
	;; [unrolled: 1-line block ×3, first 2 shown]
	s_delay_alu instid0(VALU_DEP_3) | instskip(SKIP_1) | instid1(VALU_DEP_4)
	v_fma_f64 v[56:57], v[92:93], v[138:139], -v[46:47]
	v_mul_f64 v[46:47], v[90:91], v[146:147]
	v_fma_f64 v[58:59], v[88:89], v[146:147], -v[58:59]
	s_delay_alu instid0(VALU_DEP_4) | instskip(NEXT) | instid1(VALU_DEP_3)
	v_fma_f64 v[44:45], v[92:93], v[136:137], v[44:45]
	v_fma_f64 v[46:47], v[88:89], v[144:145], v[46:47]
	v_mul_f64 v[88:89], v[86:87], v[134:135]
	v_mul_f64 v[86:87], v[86:87], v[132:133]
	v_add_f64 v[94:95], v[56:57], -v[58:59]
	v_add_f64 v[203:204], v[56:57], v[58:59]
	v_add_f64 v[209:210], v[44:45], v[46:47]
	v_fma_f64 v[88:89], v[84:85], v[132:133], v[88:89]
	v_fma_f64 v[86:87], v[84:85], v[134:135], -v[86:87]
	v_mul_f64 v[84:85], v[82:83], v[142:143]
	v_mul_f64 v[82:83], v[82:83], v[140:141]
	;; [unrolled: 1-line block ×3, first 2 shown]
	s_delay_alu instid0(VALU_DEP_3) | instskip(NEXT) | instid1(VALU_DEP_3)
	v_fma_f64 v[84:85], v[80:81], v[140:141], v[84:85]
	v_fma_f64 v[80:81], v[80:81], v[142:143], -v[82:83]
	v_mul_f64 v[82:83], v[78:79], v[54:55]
	s_delay_alu instid0(VALU_DEP_1) | instskip(SKIP_2) | instid1(VALU_DEP_2)
	v_fma_f64 v[82:83], v[76:77], v[52:53], v[82:83]
	v_mul_f64 v[52:53], v[78:79], v[52:53]
	v_add_f64 v[78:79], v[44:45], -v[46:47]
	v_fma_f64 v[76:77], v[76:77], v[54:55], -v[52:53]
	v_mul_f64 v[52:53], v[74:75], v[154:155]
	v_mul_f64 v[54:55], v[74:75], v[152:153]
	v_add_f64 v[74:75], v[86:87], -v[80:81]
	v_mul_f64 v[207:208], v[78:79], s[20:21]
	s_delay_alu instid0(VALU_DEP_4) | instskip(NEXT) | instid1(VALU_DEP_4)
	v_fma_f64 v[52:53], v[72:73], v[152:153], v[52:53]
	v_fma_f64 v[54:55], v[72:73], v[154:155], -v[54:55]
	v_mul_f64 v[72:73], v[66:67], v[50:51]
	s_delay_alu instid0(VALU_DEP_3) | instskip(NEXT) | instid1(VALU_DEP_3)
	v_add_f64 v[144:145], v[82:83], -v[52:53]
	v_add_f64 v[146:147], v[76:77], -v[54:55]
	s_delay_alu instid0(VALU_DEP_3) | instskip(SKIP_1) | instid1(VALU_DEP_4)
	v_fma_f64 v[72:73], v[64:65], v[48:49], v[72:73]
	v_mul_f64 v[48:49], v[66:67], v[48:49]
	v_mul_f64 v[136:137], v[144:145], s[24:25]
	s_delay_alu instid0(VALU_DEP_4) | instskip(SKIP_1) | instid1(VALU_DEP_4)
	v_mul_f64 v[138:139], v[146:147], s[24:25]
	v_mul_f64 v[195:196], v[146:147], s[18:19]
	v_fma_f64 v[66:67], v[64:65], v[50:51], -v[48:49]
	v_mul_f64 v[50:51], v[70:71], v[148:149]
	v_mul_f64 v[48:49], v[70:71], v[150:151]
	v_mul_f64 v[70:71], v[74:75], s[24:25]
	s_delay_alu instid0(VALU_DEP_3) | instskip(SKIP_3) | instid1(VALU_DEP_4)
	v_fma_f64 v[64:65], v[68:69], v[150:151], -v[50:51]
	v_mul_f64 v[50:51], v[62:63], v[130:131]
	v_mul_f64 v[62:63], v[62:63], v[128:129]
	v_fma_f64 v[48:49], v[68:69], v[148:149], v[48:49]
	v_add_f64 v[189:190], v[66:67], v[64:65]
	s_delay_alu instid0(VALU_DEP_4) | instskip(NEXT) | instid1(VALU_DEP_4)
	v_fma_f64 v[50:51], v[60:61], v[128:129], v[50:51]
	v_fma_f64 v[60:61], v[60:61], v[130:131], -v[62:63]
	v_add_f64 v[62:63], v[88:89], -v[84:85]
	v_mul_f64 v[128:129], v[78:79], s[24:25]
	v_mul_f64 v[130:131], v[94:95], s[24:25]
	v_add_f64 v[187:188], v[72:73], -v[48:49]
	v_add_f64 v[191:192], v[72:73], v[48:49]
	v_add_f64 v[90:91], v[159:160], -v[50:51]
	v_add_f64 v[142:143], v[157:158], v[60:61]
	v_mul_f64 v[68:69], v[62:63], s[24:25]
	s_mov_b32 s25, 0xbfed1bb4
	v_add_f64 v[171:172], v[159:160], v[50:51]
	v_add_f64 v[159:160], v[40:41], v[159:160]
	v_mul_f64 v[92:93], v[90:91], s[22:23]
	v_mul_f64 v[132:133], v[90:91], s[18:19]
	;; [unrolled: 1-line block ×5, first 2 shown]
	v_fma_f64 v[148:149], v[142:143], s[12:13], v[92:93]
	v_fma_f64 v[92:93], v[142:143], s[12:13], -v[92:93]
	v_fma_f64 v[150:151], v[142:143], s[10:11], v[132:133]
	v_fma_f64 v[132:133], v[142:143], s[10:11], -v[132:133]
	v_fma_f64 v[152:153], v[142:143], s[0:1], v[134:135]
	v_fma_f64 v[134:135], v[142:143], s[0:1], -v[134:135]
	v_fma_f64 v[154:155], v[142:143], s[14:15], v[140:141]
	v_fma_f64 v[140:141], v[142:143], s[14:15], -v[140:141]
	v_fma_f64 v[161:162], v[142:143], s[8:9], -v[90:91]
	v_fma_f64 v[90:91], v[142:143], s[8:9], v[90:91]
	v_add_f64 v[142:143], v[157:158], -v[60:61]
	v_add_f64 v[157:158], v[42:43], v[157:158]
	v_add_f64 v[148:149], v[42:43], v[148:149]
	;; [unrolled: 1-line block ×10, first 2 shown]
	v_mul_f64 v[163:164], v[142:143], s[22:23]
	v_mul_f64 v[165:166], v[142:143], s[18:19]
	;; [unrolled: 1-line block ×6, first 2 shown]
	v_fma_f64 v[173:174], v[171:172], s[12:13], -v[163:164]
	v_fma_f64 v[163:164], v[171:172], s[12:13], v[163:164]
	v_fma_f64 v[175:176], v[171:172], s[10:11], -v[165:166]
	v_fma_f64 v[165:166], v[171:172], s[10:11], v[165:166]
	;; [unrolled: 2-line block ×3, first 2 shown]
	v_fma_f64 v[179:180], v[171:172], s[14:15], v[169:170]
	v_fma_f64 v[169:170], v[171:172], s[14:15], -v[169:170]
	v_fma_f64 v[181:182], v[171:172], s[8:9], v[142:143]
	v_fma_f64 v[142:143], v[171:172], s[8:9], -v[142:143]
	v_add_f64 v[171:172], v[40:41], v[173:174]
	v_add_f64 v[163:164], v[40:41], v[163:164]
	;; [unrolled: 1-line block ×10, first 2 shown]
	v_fma_f64 v[40:41], v[189:190], s[14:15], v[90:91]
	v_add_f64 v[177:178], v[42:43], v[134:135]
	v_mul_f64 v[142:143], v[144:145], s[18:19]
	v_fma_f64 v[90:91], v[189:190], s[14:15], -v[90:91]
	s_delay_alu instid0(VALU_DEP_4) | instskip(SKIP_1) | instid1(VALU_DEP_3)
	v_add_f64 v[40:41], v[40:41], v[148:149]
	v_add_f64 v[148:149], v[66:67], -v[64:65]
	v_add_f64 v[90:91], v[90:91], v[92:93]
	s_delay_alu instid0(VALU_DEP_2) | instskip(NEXT) | instid1(VALU_DEP_1)
	v_mul_f64 v[134:135], v[148:149], s[16:17]
	v_fma_f64 v[42:43], v[191:192], s[14:15], -v[134:135]
	v_fma_f64 v[92:93], v[191:192], s[14:15], v[134:135]
	s_delay_alu instid0(VALU_DEP_2) | instskip(SKIP_1) | instid1(VALU_DEP_3)
	v_add_f64 v[42:43], v[42:43], v[171:172]
	v_add_f64 v[171:172], v[76:77], v[54:55]
	;; [unrolled: 1-line block ×3, first 2 shown]
	s_delay_alu instid0(VALU_DEP_2) | instskip(SKIP_2) | instid1(VALU_DEP_3)
	v_fma_f64 v[193:194], v[171:172], s[10:11], v[142:143]
	v_fma_f64 v[134:135], v[171:172], s[10:11], -v[142:143]
	v_mul_f64 v[142:143], v[148:149], s[28:29]
	v_add_f64 v[40:41], v[193:194], v[40:41]
	v_add_f64 v[193:194], v[82:83], v[52:53]
	s_delay_alu instid0(VALU_DEP_4) | instskip(NEXT) | instid1(VALU_DEP_2)
	v_add_f64 v[90:91], v[134:135], v[90:91]
	v_fma_f64 v[197:198], v[193:194], s[10:11], -v[195:196]
	v_fma_f64 v[134:135], v[193:194], s[10:11], v[195:196]
	s_delay_alu instid0(VALU_DEP_2) | instskip(SKIP_1) | instid1(VALU_DEP_3)
	v_add_f64 v[42:43], v[197:198], v[42:43]
	v_add_f64 v[197:198], v[86:87], v[80:81]
	;; [unrolled: 1-line block ×3, first 2 shown]
	v_mul_f64 v[134:135], v[187:188], s[28:29]
	s_delay_alu instid0(VALU_DEP_3) | instskip(SKIP_1) | instid1(VALU_DEP_2)
	v_fma_f64 v[199:200], v[197:198], s[8:9], v[68:69]
	v_fma_f64 v[68:69], v[197:198], s[8:9], -v[68:69]
	v_add_f64 v[40:41], v[199:200], v[40:41]
	v_add_f64 v[199:200], v[88:89], v[84:85]
	s_delay_alu instid0(VALU_DEP_3) | instskip(NEXT) | instid1(VALU_DEP_2)
	v_add_f64 v[68:69], v[68:69], v[90:91]
	v_fma_f64 v[201:202], v[199:200], s[8:9], -v[70:71]
	v_fma_f64 v[70:71], v[199:200], s[8:9], v[70:71]
	s_delay_alu instid0(VALU_DEP_2) | instskip(NEXT) | instid1(VALU_DEP_2)
	v_add_f64 v[201:202], v[201:202], v[42:43]
	v_add_f64 v[90:91], v[70:71], v[92:93]
	v_fma_f64 v[70:71], v[203:204], s[0:1], -v[207:208]
	v_fma_f64 v[92:93], v[209:210], s[0:1], v[211:212]
	v_fma_f64 v[42:43], v[203:204], s[0:1], v[207:208]
	s_delay_alu instid0(VALU_DEP_3) | instskip(NEXT) | instid1(VALU_DEP_3)
	v_add_f64 v[70:71], v[70:71], v[68:69]
	v_add_f64 v[68:69], v[92:93], v[90:91]
	v_fma_f64 v[90:91], v[189:190], s[0:1], v[134:135]
	v_fma_f64 v[92:93], v[191:192], s[0:1], -v[142:143]
	v_fma_f64 v[134:135], v[189:190], s[0:1], -v[134:135]
	v_add_f64 v[42:43], v[42:43], v[40:41]
	v_fma_f64 v[40:41], v[209:210], s[0:1], -v[211:212]
	v_add_f64 v[90:91], v[90:91], v[150:151]
	v_mul_f64 v[150:151], v[144:145], s[26:27]
	v_add_f64 v[92:93], v[92:93], v[173:174]
	v_add_f64 v[132:133], v[134:135], v[132:133]
	v_fma_f64 v[134:135], v[191:192], s[0:1], v[142:143]
	v_add_f64 v[40:41], v[40:41], v[201:202]
	v_fma_f64 v[163:164], v[171:172], s[14:15], v[150:151]
	v_fma_f64 v[142:143], v[171:172], s[14:15], -v[150:151]
	v_mul_f64 v[150:151], v[148:149], s[34:35]
	v_add_f64 v[134:135], v[134:135], v[165:166]
	s_delay_alu instid0(VALU_DEP_4) | instskip(SKIP_2) | instid1(VALU_DEP_2)
	v_add_f64 v[90:91], v[163:164], v[90:91]
	v_mul_f64 v[163:164], v[146:147], s[26:27]
	v_add_f64 v[132:133], v[142:143], v[132:133]
	v_fma_f64 v[173:174], v[193:194], s[14:15], -v[163:164]
	v_fma_f64 v[142:143], v[193:194], s[14:15], v[163:164]
	s_delay_alu instid0(VALU_DEP_2) | instskip(SKIP_1) | instid1(VALU_DEP_3)
	v_add_f64 v[92:93], v[173:174], v[92:93]
	v_mul_f64 v[173:174], v[62:63], s[22:23]
	v_add_f64 v[134:135], v[142:143], v[134:135]
	s_delay_alu instid0(VALU_DEP_2) | instskip(SKIP_2) | instid1(VALU_DEP_3)
	v_fma_f64 v[195:196], v[197:198], s[12:13], v[173:174]
	v_fma_f64 v[142:143], v[197:198], s[12:13], -v[173:174]
	v_mul_f64 v[173:174], v[78:79], s[18:19]
	v_add_f64 v[90:91], v[195:196], v[90:91]
	v_mul_f64 v[195:196], v[74:75], s[22:23]
	s_delay_alu instid0(VALU_DEP_4) | instskip(NEXT) | instid1(VALU_DEP_2)
	v_add_f64 v[132:133], v[142:143], v[132:133]
	v_fma_f64 v[201:202], v[199:200], s[12:13], -v[195:196]
	v_fma_f64 v[142:143], v[199:200], s[12:13], v[195:196]
	s_delay_alu instid0(VALU_DEP_2) | instskip(SKIP_1) | instid1(VALU_DEP_3)
	v_add_f64 v[201:202], v[201:202], v[92:93]
	v_fma_f64 v[92:93], v[203:204], s[8:9], v[128:129]
	v_add_f64 v[134:135], v[142:143], v[134:135]
	v_fma_f64 v[128:129], v[203:204], s[8:9], -v[128:129]
	v_fma_f64 v[142:143], v[209:210], s[8:9], v[130:131]
	s_delay_alu instid0(VALU_DEP_4) | instskip(SKIP_1) | instid1(VALU_DEP_4)
	v_add_f64 v[92:93], v[92:93], v[90:91]
	v_fma_f64 v[90:91], v[209:210], s[8:9], -v[130:131]
	v_add_f64 v[130:131], v[128:129], v[132:133]
	s_delay_alu instid0(VALU_DEP_4) | instskip(SKIP_4) | instid1(VALU_DEP_4)
	v_add_f64 v[128:129], v[142:143], v[134:135]
	v_mul_f64 v[142:143], v[187:188], s[34:35]
	v_fma_f64 v[134:135], v[191:192], s[12:13], -v[150:151]
	v_fma_f64 v[150:151], v[191:192], s[12:13], v[150:151]
	v_add_f64 v[90:91], v[90:91], v[201:202]
	v_fma_f64 v[132:133], v[189:190], s[12:13], v[142:143]
	s_delay_alu instid0(VALU_DEP_4)
	v_add_f64 v[134:135], v[134:135], v[175:176]
	v_fma_f64 v[142:143], v[189:190], s[12:13], -v[142:143]
	v_add_f64 v[150:151], v[150:151], v[167:168]
	v_mul_f64 v[175:176], v[94:95], s[18:19]
	v_mul_f64 v[167:168], v[146:147], s[20:21]
	v_add_f64 v[132:133], v[132:133], v[152:153]
	v_fma_f64 v[152:153], v[171:172], s[8:9], v[136:137]
	v_add_f64 v[142:143], v[142:143], v[177:178]
	v_fma_f64 v[136:137], v[171:172], s[8:9], -v[136:137]
	v_mul_f64 v[177:178], v[78:79], s[22:23]
	v_mul_f64 v[78:79], v[78:79], s[16:17]
	v_add_f64 v[132:133], v[152:153], v[132:133]
	v_fma_f64 v[152:153], v[193:194], s[8:9], -v[138:139]
	v_add_f64 v[136:137], v[136:137], v[142:143]
	v_fma_f64 v[138:139], v[193:194], s[8:9], v[138:139]
	s_delay_alu instid0(VALU_DEP_3) | instskip(SKIP_1) | instid1(VALU_DEP_3)
	v_add_f64 v[134:135], v[152:153], v[134:135]
	v_mul_f64 v[152:153], v[62:63], s[26:27]
	v_add_f64 v[138:139], v[138:139], v[150:151]
	v_fma_f64 v[150:151], v[209:210], s[10:11], v[175:176]
	s_delay_alu instid0(VALU_DEP_3) | instskip(SKIP_2) | instid1(VALU_DEP_3)
	v_fma_f64 v[163:164], v[197:198], s[14:15], v[152:153]
	v_fma_f64 v[142:143], v[197:198], s[14:15], -v[152:153]
	v_mul_f64 v[152:153], v[187:188], s[24:25]
	v_add_f64 v[132:133], v[163:164], v[132:133]
	v_mul_f64 v[163:164], v[74:75], s[26:27]
	s_delay_alu instid0(VALU_DEP_4) | instskip(NEXT) | instid1(VALU_DEP_2)
	v_add_f64 v[136:137], v[142:143], v[136:137]
	v_fma_f64 v[165:166], v[199:200], s[14:15], -v[163:164]
	v_fma_f64 v[142:143], v[199:200], s[14:15], v[163:164]
	v_mul_f64 v[163:164], v[148:149], s[24:25]
	v_mul_f64 v[148:149], v[148:149], s[18:19]
	s_delay_alu instid0(VALU_DEP_4)
	v_add_f64 v[165:166], v[165:166], v[134:135]
	v_fma_f64 v[134:135], v[203:204], s[10:11], v[173:174]
	v_add_f64 v[142:143], v[142:143], v[138:139]
	v_fma_f64 v[138:139], v[203:204], s[10:11], -v[173:174]
	v_mul_f64 v[173:174], v[62:63], s[18:19]
	v_mul_f64 v[62:63], v[62:63], s[28:29]
	v_add_f64 v[134:135], v[134:135], v[132:133]
	v_fma_f64 v[132:133], v[209:210], s[10:11], -v[175:176]
	v_add_f64 v[138:139], v[138:139], v[136:137]
	v_add_f64 v[136:137], v[150:151], v[142:143]
	v_fma_f64 v[142:143], v[189:190], s[8:9], -v[152:153]
	v_mul_f64 v[175:176], v[74:75], s[18:19]
	v_mul_f64 v[74:75], v[74:75], s[28:29]
	v_add_f64 v[132:133], v[132:133], v[165:166]
	v_mul_f64 v[165:166], v[144:145], s[20:21]
	v_add_f64 v[140:141], v[142:143], v[140:141]
	v_fma_f64 v[142:143], v[191:192], s[8:9], v[163:164]
	s_delay_alu instid0(VALU_DEP_3) | instskip(NEXT) | instid1(VALU_DEP_2)
	v_fma_f64 v[150:151], v[171:172], s[0:1], -v[165:166]
	v_add_f64 v[142:143], v[142:143], v[179:180]
	v_mul_f64 v[179:180], v[94:95], s[22:23]
	v_mul_f64 v[94:95], v[94:95], s[16:17]
	s_delay_alu instid0(VALU_DEP_4) | instskip(SKIP_1) | instid1(VALU_DEP_1)
	v_add_f64 v[140:141], v[150:151], v[140:141]
	v_fma_f64 v[150:151], v[193:194], s[0:1], v[167:168]
	v_add_f64 v[142:143], v[150:151], v[142:143]
	v_fma_f64 v[150:151], v[197:198], s[10:11], -v[173:174]
	s_delay_alu instid0(VALU_DEP_1) | instskip(SKIP_1) | instid1(VALU_DEP_1)
	v_add_f64 v[140:141], v[150:151], v[140:141]
	v_fma_f64 v[150:151], v[199:200], s[10:11], v[175:176]
	v_add_f64 v[150:151], v[150:151], v[142:143]
	v_fma_f64 v[142:143], v[203:204], s[12:13], -v[177:178]
	s_delay_alu instid0(VALU_DEP_1) | instskip(SKIP_1) | instid1(VALU_DEP_1)
	v_add_f64 v[142:143], v[142:143], v[140:141]
	v_fma_f64 v[140:141], v[209:210], s[12:13], v[179:180]
	v_add_f64 v[140:141], v[140:141], v[150:151]
	v_mul_f64 v[150:151], v[187:188], s[18:19]
	s_delay_alu instid0(VALU_DEP_1) | instskip(SKIP_1) | instid1(VALU_DEP_2)
	v_fma_f64 v[187:188], v[189:190], s[10:11], -v[150:151]
	v_fma_f64 v[150:151], v[189:190], s[10:11], v[150:151]
	v_add_f64 v[161:162], v[187:188], v[161:162]
	v_fma_f64 v[187:188], v[191:192], s[10:11], v[148:149]
	s_delay_alu instid0(VALU_DEP_3) | instskip(SKIP_1) | instid1(VALU_DEP_3)
	v_add_f64 v[150:151], v[150:151], v[183:184]
	v_fma_f64 v[148:149], v[191:192], s[10:11], -v[148:149]
	v_add_f64 v[181:182], v[187:188], v[181:182]
	v_mul_f64 v[187:188], v[144:145], s[34:35]
	s_delay_alu instid0(VALU_DEP_3) | instskip(NEXT) | instid1(VALU_DEP_2)
	v_add_f64 v[148:149], v[148:149], v[185:186]
	v_fma_f64 v[144:145], v[171:172], s[12:13], -v[187:188]
	s_delay_alu instid0(VALU_DEP_1) | instskip(SKIP_1) | instid1(VALU_DEP_1)
	v_add_f64 v[144:145], v[144:145], v[161:162]
	v_mul_f64 v[161:162], v[146:147], s[34:35]
	v_fma_f64 v[146:147], v[193:194], s[12:13], v[161:162]
	v_fma_f64 v[161:162], v[193:194], s[12:13], -v[161:162]
	s_delay_alu instid0(VALU_DEP_2) | instskip(SKIP_2) | instid1(VALU_DEP_4)
	v_add_f64 v[146:147], v[146:147], v[181:182]
	v_fma_f64 v[181:182], v[197:198], s[0:1], -v[62:63]
	v_fma_f64 v[62:63], v[197:198], s[0:1], v[62:63]
	v_add_f64 v[148:149], v[161:162], v[148:149]
	s_delay_alu instid0(VALU_DEP_3) | instskip(SKIP_2) | instid1(VALU_DEP_2)
	v_add_f64 v[144:145], v[181:182], v[144:145]
	v_fma_f64 v[181:182], v[199:200], s[0:1], v[74:75]
	v_fma_f64 v[74:75], v[199:200], s[0:1], -v[74:75]
	v_add_f64 v[181:182], v[181:182], v[146:147]
	v_fma_f64 v[146:147], v[203:204], s[14:15], -v[78:79]
	v_fma_f64 v[78:79], v[203:204], s[14:15], v[78:79]
	s_delay_alu instid0(VALU_DEP_4) | instskip(NEXT) | instid1(VALU_DEP_3)
	v_add_f64 v[74:75], v[74:75], v[148:149]
	v_add_f64 v[146:147], v[146:147], v[144:145]
	v_fma_f64 v[144:145], v[209:210], s[14:15], v[94:95]
	v_fma_f64 v[94:95], v[209:210], s[14:15], -v[94:95]
	s_delay_alu instid0(VALU_DEP_2) | instskip(SKIP_1) | instid1(VALU_DEP_3)
	v_add_f64 v[144:145], v[144:145], v[181:182]
	v_fma_f64 v[181:182], v[171:172], s[12:13], v[187:188]
	v_add_f64 v[148:149], v[94:95], v[74:75]
	s_delay_alu instid0(VALU_DEP_2) | instskip(NEXT) | instid1(VALU_DEP_1)
	v_add_f64 v[150:151], v[181:182], v[150:151]
	v_add_f64 v[62:63], v[62:63], v[150:151]
	s_delay_alu instid0(VALU_DEP_1) | instskip(SKIP_2) | instid1(VALU_DEP_2)
	v_add_f64 v[150:151], v[78:79], v[62:63]
	v_add_f64 v[62:63], v[157:158], v[66:67]
	v_add_f64 v[66:67], v[159:160], v[72:73]
	v_add_f64 v[62:63], v[62:63], v[76:77]
	s_delay_alu instid0(VALU_DEP_2) | instskip(NEXT) | instid1(VALU_DEP_2)
	v_add_f64 v[66:67], v[66:67], v[82:83]
	v_add_f64 v[62:63], v[62:63], v[86:87]
	s_delay_alu instid0(VALU_DEP_2) | instskip(NEXT) | instid1(VALU_DEP_2)
	v_add_f64 v[66:67], v[66:67], v[88:89]
	v_add_f64 v[56:57], v[62:63], v[56:57]
	;; [unrolled: 3-line block ×3, first 2 shown]
	s_delay_alu instid0(VALU_DEP_2) | instskip(SKIP_1) | instid1(VALU_DEP_3)
	v_add_f64 v[44:45], v[44:45], v[46:47]
	v_fma_f64 v[58:59], v[199:200], s[10:11], -v[175:176]
	v_add_f64 v[46:47], v[56:57], v[80:81]
	s_delay_alu instid0(VALU_DEP_3) | instskip(SKIP_1) | instid1(VALU_DEP_3)
	v_add_f64 v[44:45], v[44:45], v[84:85]
	v_fma_f64 v[56:57], v[197:198], s[10:11], v[173:174]
	v_add_f64 v[46:47], v[46:47], v[54:55]
	s_delay_alu instid0(VALU_DEP_3) | instskip(SKIP_2) | instid1(VALU_DEP_4)
	v_add_f64 v[44:45], v[44:45], v[52:53]
	v_fma_f64 v[52:53], v[171:172], s[0:1], v[165:166]
	v_fma_f64 v[54:55], v[193:194], s[0:1], -v[167:168]
	v_add_f64 v[46:47], v[46:47], v[64:65]
	s_delay_alu instid0(VALU_DEP_4) | instskip(SKIP_1) | instid1(VALU_DEP_3)
	v_add_f64 v[44:45], v[44:45], v[48:49]
	v_fma_f64 v[48:49], v[189:190], s[8:9], v[152:153]
	v_add_f64 v[46:47], v[46:47], v[60:61]
	s_delay_alu instid0(VALU_DEP_3) | instskip(SKIP_1) | instid1(VALU_DEP_4)
	v_add_f64 v[44:45], v[44:45], v[50:51]
	v_fma_f64 v[50:51], v[191:192], s[8:9], -v[163:164]
	v_add_f64 v[48:49], v[48:49], v[154:155]
	s_delay_alu instid0(VALU_DEP_2) | instskip(NEXT) | instid1(VALU_DEP_2)
	v_add_f64 v[50:51], v[50:51], v[169:170]
	v_add_f64 v[48:49], v[52:53], v[48:49]
	v_fma_f64 v[52:53], v[203:204], s[12:13], v[177:178]
	s_delay_alu instid0(VALU_DEP_3) | instskip(SKIP_1) | instid1(VALU_DEP_4)
	v_add_f64 v[50:51], v[54:55], v[50:51]
	v_fma_f64 v[54:55], v[209:210], s[12:13], -v[179:180]
	v_add_f64 v[48:49], v[56:57], v[48:49]
	s_delay_alu instid0(VALU_DEP_3) | instskip(NEXT) | instid1(VALU_DEP_2)
	v_add_f64 v[56:57], v[58:59], v[50:51]
	v_add_f64 v[50:51], v[52:53], v[48:49]
	v_mul_u32_u24_e32 v52, 0x160, v1
	s_delay_alu instid0(VALU_DEP_1) | instskip(NEXT) | instid1(VALU_DEP_1)
	v_or_b32_e32 v52, v52, v35
	v_lshlrev_b32_e32 v52, 4, v52
	v_add_f64 v[48:49], v[54:55], v[56:57]
	ds_store_b128 v52, v[128:131] offset:2048
	ds_store_b128 v52, v[68:71] offset:2560
	;; [unrolled: 1-line block ×9, first 2 shown]
	ds_store_b128 v52, v[44:47]
	ds_store_b128 v52, v[48:51] offset:5120
.LBB0_9:
	s_or_b32 exec_lo, exec_lo, s30
	s_waitcnt lgkmcnt(0)
	s_barrier
	buffer_gl0_inv
	ds_load_b128 v[40:43], v206 offset:5632
	ds_load_b128 v[44:47], v206 offset:11264
	;; [unrolled: 1-line block ×8, first 2 shown]
	s_mov_b32 s0, 0x134454ff
	s_mov_b32 s1, 0xbfee6f0e
	;; [unrolled: 1-line block ×4, first 2 shown]
	s_waitcnt lgkmcnt(7)
	v_mul_f64 v[72:73], v[98:99], v[42:43]
	s_waitcnt lgkmcnt(6)
	v_mul_f64 v[76:77], v[110:111], v[46:47]
	v_mul_f64 v[78:79], v[110:111], v[44:45]
	s_waitcnt lgkmcnt(5)
	v_mul_f64 v[80:81], v[106:107], v[50:51]
	;; [unrolled: 3-line block ×5, first 2 shown]
	v_mul_f64 v[102:103], v[114:115], v[64:65]
	v_mul_f64 v[74:75], v[98:99], v[40:41]
	;; [unrolled: 1-line block ×3, first 2 shown]
	s_waitcnt lgkmcnt(0)
	v_mul_f64 v[98:99], v[126:127], v[70:71]
	v_mul_f64 v[106:107], v[122:123], v[56:57]
	;; [unrolled: 1-line block ×3, first 2 shown]
	v_fma_f64 v[72:73], v[96:97], v[40:41], v[72:73]
	v_fma_f64 v[76:77], v[108:109], v[44:45], v[76:77]
	v_fma_f64 v[78:79], v[108:109], v[46:47], -v[78:79]
	v_fma_f64 v[48:49], v[104:105], v[48:49], v[80:81]
	v_fma_f64 v[50:51], v[104:105], v[50:51], -v[82:83]
	;; [unrolled: 2-line block ×5, first 2 shown]
	v_fma_f64 v[74:75], v[96:97], v[42:43], -v[74:75]
	v_fma_f64 v[56:57], v[120:121], v[56:57], v[88:89]
	v_fma_f64 v[68:69], v[124:125], v[68:69], v[98:99]
	v_fma_f64 v[58:59], v[120:121], v[58:59], -v[106:107]
	v_fma_f64 v[70:71], v[124:125], v[70:71], -v[110:111]
	ds_load_b128 v[40:43], v206
	ds_load_b128 v[44:47], v206 offset:2816
	s_waitcnt lgkmcnt(1)
	v_add_f64 v[96:97], v[40:41], v[72:73]
	v_add_f64 v[80:81], v[76:77], v[48:49]
	;; [unrolled: 1-line block ×4, first 2 shown]
	v_add_f64 v[104:105], v[72:73], -v[52:53]
	v_add_f64 v[100:101], v[78:79], -v[50:51]
	;; [unrolled: 1-line block ×3, first 2 shown]
	v_add_f64 v[88:89], v[60:61], v[64:65]
	v_add_f64 v[92:93], v[62:63], v[66:67]
	;; [unrolled: 1-line block ×5, first 2 shown]
	s_waitcnt lgkmcnt(0)
	v_add_f64 v[108:109], v[44:45], v[56:57]
	v_add_f64 v[94:95], v[58:59], v[70:71]
	;; [unrolled: 1-line block ×3, first 2 shown]
	v_add_f64 v[98:99], v[74:75], -v[54:55]
	v_add_f64 v[112:113], v[58:59], -v[70:71]
	;; [unrolled: 1-line block ×16, first 2 shown]
	v_fma_f64 v[80:81], v[80:81], -0.5, v[40:41]
	v_fma_f64 v[84:85], v[84:85], -0.5, v[42:43]
	;; [unrolled: 1-line block ×3, first 2 shown]
	v_add_f64 v[82:83], v[62:63], -v[66:67]
	v_fma_f64 v[88:89], v[88:89], -0.5, v[44:45]
	v_fma_f64 v[92:93], v[92:93], -0.5, v[46:47]
	;; [unrolled: 1-line block ×3, first 2 shown]
	v_add_f64 v[86:87], v[60:61], -v[64:65]
	v_fma_f64 v[44:45], v[90:91], -0.5, v[44:45]
	v_add_f64 v[90:91], v[72:73], -v[76:77]
	v_fma_f64 v[46:47], v[94:95], -0.5, v[46:47]
	v_add_f64 v[72:73], v[76:77], -v[72:73]
	v_add_f64 v[76:77], v[96:97], v[76:77]
	v_add_f64 v[78:79], v[102:103], v[78:79]
	v_add_f64 v[94:95], v[52:53], -v[48:49]
	v_add_f64 v[60:61], v[108:109], v[60:61]
	v_add_f64 v[62:63], v[110:111], v[62:63]
	;; [unrolled: 1-line block ×4, first 2 shown]
	v_fma_f64 v[96:97], v[98:99], s[0:1], v[80:81]
	v_fma_f64 v[108:109], v[104:105], s[8:9], v[84:85]
	;; [unrolled: 1-line block ×16, first 2 shown]
	s_mov_b32 s0, 0x4755a5e
	s_mov_b32 s1, 0xbfe2cf23
	;; [unrolled: 1-line block ×4, first 2 shown]
	v_add_f64 v[48:49], v[76:77], v[48:49]
	v_add_f64 v[50:51], v[78:79], v[50:51]
	v_add_f64 v[90:91], v[90:91], v[94:95]
	v_add_f64 v[94:95], v[118:119], v[120:121]
	v_add_f64 v[118:119], v[56:57], v[128:129]
	v_add_f64 v[56:57], v[60:61], v[64:65]
	v_add_f64 v[58:59], v[62:63], v[66:67]
	v_add_f64 v[72:73], v[72:73], v[116:117]
	v_add_f64 v[116:117], v[124:125], v[126:127]
	v_add_f64 v[120:121], v[130:131], v[132:133]
	v_fma_f64 v[60:61], v[100:101], s[0:1], v[96:97]
	v_fma_f64 v[76:77], v[106:107], s[8:9], v[108:109]
	;; [unrolled: 1-line block ×16, first 2 shown]
	s_mov_b32 s0, 0x372fe950
	s_mov_b32 s1, 0x3fd3c6ef
	s_mul_i32 s8, s4, 0xffffd400
	v_add_f64 v[40:41], v[48:49], v[52:53]
	v_add_f64 v[42:43], v[50:51], v[54:55]
	;; [unrolled: 1-line block ×4, first 2 shown]
	v_fma_f64 v[48:49], v[90:91], s[0:1], v[60:61]
	v_fma_f64 v[50:51], v[94:95], s[0:1], v[76:77]
	;; [unrolled: 1-line block ×16, first 2 shown]
	v_mad_u64_u32 v[80:81], null, s6, v18, 0
	v_mad_u64_u32 v[82:83], null, s4, v20, 0
	s_mul_i32 s0, s5, 0x3700
	s_mul_hi_u32 s1, s4, 0x3700
	s_mul_i32 s6, s4, 0x3700
	s_add_i32 s9, s1, s0
	ds_store_b128 v206, v[40:43]
	ds_store_b128 v206, v[44:47] offset:2816
	ds_store_b128 v206, v[48:51] offset:5632
	;; [unrolled: 1-line block ×9, first 2 shown]
	s_waitcnt lgkmcnt(0)
	s_barrier
	buffer_gl0_inv
	ds_load_b128 v[40:43], v206
	ds_load_b128 v[44:47], v206 offset:14080
	ds_load_b128 v[48:51], v206 offset:2816
	;; [unrolled: 1-line block ×9, first 2 shown]
	s_clause 0x1
	scratch_load_b128 v[32:35], off, off
	scratch_load_b128 v[36:39], off, off offset:16
	v_mad_u64_u32 v[84:85], null, s7, v18, v[81:82]
	s_mul_hi_u32 s7, s4, 0xffffd400
	s_delay_alu instid0(SALU_CYCLE_1) | instskip(NEXT) | instid1(VALU_DEP_1)
	s_sub_i32 s0, s7, s4
	v_mad_u64_u32 v[105:106], null, s5, v20, v[83:84]
	v_mov_b32_e32 v81, v84
	s_mulk_i32 s5, 0xd400
	s_waitcnt lgkmcnt(5)
	v_mul_f64 v[93:94], v[224:225], v[58:59]
	s_waitcnt lgkmcnt(4)
	v_mul_f64 v[95:96], v[228:229], v[62:63]
	v_mul_f64 v[85:86], v[216:217], v[42:43]
	v_mul_f64 v[2:3], v[216:217], v[40:41]
	v_mul_f64 v[87:88], v[245:246], v[46:47]
	v_mul_f64 v[22:23], v[245:246], v[44:45]
	v_mul_f64 v[89:90], v[220:221], v[50:51]
	v_mul_f64 v[6:7], v[220:221], v[48:49]
	v_mul_f64 v[91:92], v[10:11], v[54:55]
	v_mul_f64 v[18:19], v[10:11], v[52:53]
	v_mul_f64 v[10:11], v[224:225], v[56:57]
	v_mul_f64 v[14:15], v[228:229], v[60:61]
	s_waitcnt lgkmcnt(3)
	v_mul_f64 v[97:98], v[249:250], v[66:67]
	v_mul_f64 v[26:27], v[249:250], v[64:65]
	s_waitcnt lgkmcnt(2)
	v_mul_f64 v[99:100], v[253:254], v[70:71]
	v_mul_f64 v[30:31], v[253:254], v[68:69]
	v_mov_b32_e32 v83, v105
	v_lshlrev_b64 v[80:81], 4, v[80:81]
	s_delay_alu instid0(VALU_DEP_2) | instskip(NEXT) | instid1(VALU_DEP_2)
	v_lshlrev_b64 v[82:83], 4, v[82:83]
	v_add_co_u32 v80, vcc_lo, s2, v80
	s_delay_alu instid0(VALU_DEP_3)
	v_add_co_ci_u32_e32 v81, vcc_lo, s3, v81, vcc_lo
	s_add_i32 s2, s0, s5
	s_mov_b32 s0, 0x29e4129e
	s_mov_b32 s1, 0x3f429e41
	v_fma_f64 v[40:41], v[214:215], v[40:41], v[85:86]
	v_fma_f64 v[2:3], v[214:215], v[42:43], -v[2:3]
	v_fma_f64 v[42:43], v[243:244], v[44:45], v[87:88]
	v_fma_f64 v[20:21], v[243:244], v[46:47], -v[22:23]
	;; [unrolled: 2-line block ×8, first 2 shown]
	v_add_co_u32 v62, vcc_lo, v80, v82
	v_add_co_ci_u32_e32 v63, vcc_lo, v81, v83, vcc_lo
	s_delay_alu instid0(VALU_DEP_2) | instskip(NEXT) | instid1(VALU_DEP_2)
	v_add_co_u32 v64, vcc_lo, v62, s6
	v_add_co_ci_u32_e32 v65, vcc_lo, s9, v63, vcc_lo
	s_delay_alu instid0(VALU_DEP_2) | instskip(NEXT) | instid1(VALU_DEP_2)
	v_add_co_u32 v66, vcc_lo, v64, s8
	v_add_co_ci_u32_e32 v67, vcc_lo, s2, v65, vcc_lo
	s_delay_alu instid0(VALU_DEP_2) | instskip(NEXT) | instid1(VALU_DEP_2)
	v_add_co_u32 v68, vcc_lo, v66, s6
	v_add_co_ci_u32_e32 v69, vcc_lo, s9, v67, vcc_lo
	v_mul_f64 v[0:1], v[40:41], s[0:1]
	v_mul_f64 v[2:3], v[2:3], s[0:1]
	;; [unrolled: 1-line block ×16, first 2 shown]
	v_add_co_u32 v40, vcc_lo, v68, s8
	v_add_co_ci_u32_e32 v41, vcc_lo, s2, v69, vcc_lo
	s_delay_alu instid0(VALU_DEP_2) | instskip(NEXT) | instid1(VALU_DEP_2)
	v_add_co_u32 v42, vcc_lo, v40, s6
	v_add_co_ci_u32_e32 v43, vcc_lo, s9, v41, vcc_lo
	s_delay_alu instid0(VALU_DEP_2) | instskip(NEXT) | instid1(VALU_DEP_2)
	v_add_co_u32 v44, vcc_lo, v42, s8
	v_add_co_ci_u32_e32 v45, vcc_lo, s2, v43, vcc_lo
	s_delay_alu instid0(VALU_DEP_2) | instskip(NEXT) | instid1(VALU_DEP_2)
	v_add_co_u32 v46, vcc_lo, v44, s6
	v_add_co_ci_u32_e32 v47, vcc_lo, s9, v45, vcc_lo
	s_delay_alu instid0(VALU_DEP_2) | instskip(NEXT) | instid1(VALU_DEP_2)
	v_add_co_u32 v48, vcc_lo, v46, s8
	v_add_co_ci_u32_e32 v49, vcc_lo, s2, v47, vcc_lo
	s_delay_alu instid0(VALU_DEP_2) | instskip(NEXT) | instid1(VALU_DEP_2)
	v_add_co_u32 v50, vcc_lo, v48, s6
	v_add_co_ci_u32_e32 v51, vcc_lo, s9, v49, vcc_lo
	s_waitcnt vmcnt(1) lgkmcnt(1)
	v_mul_f64 v[101:102], v[34:35], v[74:75]
	v_mul_f64 v[34:35], v[34:35], v[72:73]
	s_waitcnt vmcnt(0) lgkmcnt(0)
	v_mul_f64 v[103:104], v[38:39], v[78:79]
	v_mul_f64 v[38:39], v[38:39], v[76:77]
	s_delay_alu instid0(VALU_DEP_4) | instskip(NEXT) | instid1(VALU_DEP_4)
	v_fma_f64 v[58:59], v[32:33], v[72:73], v[101:102]
	v_fma_f64 v[34:35], v[32:33], v[74:75], -v[34:35]
	s_delay_alu instid0(VALU_DEP_4) | instskip(NEXT) | instid1(VALU_DEP_4)
	v_fma_f64 v[60:61], v[36:37], v[76:77], v[103:104]
	v_fma_f64 v[38:39], v[36:37], v[78:79], -v[38:39]
	s_delay_alu instid0(VALU_DEP_4) | instskip(NEXT) | instid1(VALU_DEP_4)
	v_mul_f64 v[32:33], v[58:59], s[0:1]
	v_mul_f64 v[34:35], v[34:35], s[0:1]
	s_delay_alu instid0(VALU_DEP_4) | instskip(NEXT) | instid1(VALU_DEP_4)
	v_mul_f64 v[36:37], v[60:61], s[0:1]
	v_mul_f64 v[38:39], v[38:39], s[0:1]
	s_clause 0x4
	global_store_b128 v[62:63], v[0:3], off
	global_store_b128 v[64:65], v[4:7], off
	global_store_b128 v[66:67], v[8:11], off
	global_store_b128 v[68:69], v[12:15], off
	global_store_b128 v[40:41], v[16:19], off
	global_store_b128 v[42:43], v[20:23], off
	global_store_b128 v[44:45], v[24:27], off
	global_store_b128 v[46:47], v[28:31], off
	global_store_b128 v[48:49], v[32:35], off
	global_store_b128 v[50:51], v[36:39], off
.LBB0_10:
	s_nop 0
	s_sendmsg sendmsg(MSG_DEALLOC_VGPRS)
	s_endpgm
	.section	.rodata,"a",@progbits
	.p2align	6, 0x0
	.amdhsa_kernel bluestein_single_fwd_len1760_dim1_dp_op_CI_CI
		.amdhsa_group_segment_fixed_size 28160
		.amdhsa_private_segment_fixed_size 104
		.amdhsa_kernarg_size 104
		.amdhsa_user_sgpr_count 15
		.amdhsa_user_sgpr_dispatch_ptr 0
		.amdhsa_user_sgpr_queue_ptr 0
		.amdhsa_user_sgpr_kernarg_segment_ptr 1
		.amdhsa_user_sgpr_dispatch_id 0
		.amdhsa_user_sgpr_private_segment_size 0
		.amdhsa_wavefront_size32 1
		.amdhsa_uses_dynamic_stack 0
		.amdhsa_enable_private_segment 1
		.amdhsa_system_sgpr_workgroup_id_x 1
		.amdhsa_system_sgpr_workgroup_id_y 0
		.amdhsa_system_sgpr_workgroup_id_z 0
		.amdhsa_system_sgpr_workgroup_info 0
		.amdhsa_system_vgpr_workitem_id 0
		.amdhsa_next_free_vgpr 256
		.amdhsa_next_free_sgpr 42
		.amdhsa_reserve_vcc 1
		.amdhsa_float_round_mode_32 0
		.amdhsa_float_round_mode_16_64 0
		.amdhsa_float_denorm_mode_32 3
		.amdhsa_float_denorm_mode_16_64 3
		.amdhsa_dx10_clamp 1
		.amdhsa_ieee_mode 1
		.amdhsa_fp16_overflow 0
		.amdhsa_workgroup_processor_mode 1
		.amdhsa_memory_ordered 1
		.amdhsa_forward_progress 0
		.amdhsa_shared_vgpr_count 0
		.amdhsa_exception_fp_ieee_invalid_op 0
		.amdhsa_exception_fp_denorm_src 0
		.amdhsa_exception_fp_ieee_div_zero 0
		.amdhsa_exception_fp_ieee_overflow 0
		.amdhsa_exception_fp_ieee_underflow 0
		.amdhsa_exception_fp_ieee_inexact 0
		.amdhsa_exception_int_div_zero 0
	.end_amdhsa_kernel
	.text
.Lfunc_end0:
	.size	bluestein_single_fwd_len1760_dim1_dp_op_CI_CI, .Lfunc_end0-bluestein_single_fwd_len1760_dim1_dp_op_CI_CI
                                        ; -- End function
	.section	.AMDGPU.csdata,"",@progbits
; Kernel info:
; codeLenInByte = 19256
; NumSgprs: 44
; NumVgprs: 256
; ScratchSize: 104
; MemoryBound: 0
; FloatMode: 240
; IeeeMode: 1
; LDSByteSize: 28160 bytes/workgroup (compile time only)
; SGPRBlocks: 5
; VGPRBlocks: 31
; NumSGPRsForWavesPerEU: 44
; NumVGPRsForWavesPerEU: 256
; Occupancy: 5
; WaveLimiterHint : 1
; COMPUTE_PGM_RSRC2:SCRATCH_EN: 1
; COMPUTE_PGM_RSRC2:USER_SGPR: 15
; COMPUTE_PGM_RSRC2:TRAP_HANDLER: 0
; COMPUTE_PGM_RSRC2:TGID_X_EN: 1
; COMPUTE_PGM_RSRC2:TGID_Y_EN: 0
; COMPUTE_PGM_RSRC2:TGID_Z_EN: 0
; COMPUTE_PGM_RSRC2:TIDIG_COMP_CNT: 0
	.text
	.p2alignl 7, 3214868480
	.fill 96, 4, 3214868480
	.type	__hip_cuid_af0410b32d356e69,@object ; @__hip_cuid_af0410b32d356e69
	.section	.bss,"aw",@nobits
	.globl	__hip_cuid_af0410b32d356e69
__hip_cuid_af0410b32d356e69:
	.byte	0                               ; 0x0
	.size	__hip_cuid_af0410b32d356e69, 1

	.ident	"AMD clang version 19.0.0git (https://github.com/RadeonOpenCompute/llvm-project roc-6.4.0 25133 c7fe45cf4b819c5991fe208aaa96edf142730f1d)"
	.section	".note.GNU-stack","",@progbits
	.addrsig
	.addrsig_sym __hip_cuid_af0410b32d356e69
	.amdgpu_metadata
---
amdhsa.kernels:
  - .args:
      - .actual_access:  read_only
        .address_space:  global
        .offset:         0
        .size:           8
        .value_kind:     global_buffer
      - .actual_access:  read_only
        .address_space:  global
        .offset:         8
        .size:           8
        .value_kind:     global_buffer
      - .actual_access:  read_only
        .address_space:  global
        .offset:         16
        .size:           8
        .value_kind:     global_buffer
      - .actual_access:  read_only
        .address_space:  global
        .offset:         24
        .size:           8
        .value_kind:     global_buffer
      - .actual_access:  read_only
        .address_space:  global
        .offset:         32
        .size:           8
        .value_kind:     global_buffer
      - .offset:         40
        .size:           8
        .value_kind:     by_value
      - .address_space:  global
        .offset:         48
        .size:           8
        .value_kind:     global_buffer
      - .address_space:  global
        .offset:         56
        .size:           8
        .value_kind:     global_buffer
      - .address_space:  global
        .offset:         64
        .size:           8
        .value_kind:     global_buffer
      - .address_space:  global
        .offset:         72
        .size:           8
        .value_kind:     global_buffer
      - .offset:         80
        .size:           4
        .value_kind:     by_value
      - .address_space:  global
        .offset:         88
        .size:           8
        .value_kind:     global_buffer
      - .address_space:  global
        .offset:         96
        .size:           8
        .value_kind:     global_buffer
    .group_segment_fixed_size: 28160
    .kernarg_segment_align: 8
    .kernarg_segment_size: 104
    .language:       OpenCL C
    .language_version:
      - 2
      - 0
    .max_flat_workgroup_size: 176
    .name:           bluestein_single_fwd_len1760_dim1_dp_op_CI_CI
    .private_segment_fixed_size: 104
    .sgpr_count:     44
    .sgpr_spill_count: 0
    .symbol:         bluestein_single_fwd_len1760_dim1_dp_op_CI_CI.kd
    .uniform_work_group_size: 1
    .uses_dynamic_stack: false
    .vgpr_count:     256
    .vgpr_spill_count: 25
    .wavefront_size: 32
    .workgroup_processor_mode: 1
amdhsa.target:   amdgcn-amd-amdhsa--gfx1100
amdhsa.version:
  - 1
  - 2
...

	.end_amdgpu_metadata
